;; amdgpu-corpus repo=ROCm/rocFFT kind=compiled arch=gfx906 opt=O3
	.text
	.amdgcn_target "amdgcn-amd-amdhsa--gfx906"
	.amdhsa_code_object_version 6
	.protected	bluestein_single_fwd_len630_dim1_half_op_CI_CI ; -- Begin function bluestein_single_fwd_len630_dim1_half_op_CI_CI
	.globl	bluestein_single_fwd_len630_dim1_half_op_CI_CI
	.p2align	8
	.type	bluestein_single_fwd_len630_dim1_half_op_CI_CI,@function
bluestein_single_fwd_len630_dim1_half_op_CI_CI: ; @bluestein_single_fwd_len630_dim1_half_op_CI_CI
; %bb.0:
	s_load_dwordx4 s[12:15], s[4:5], 0x28
	v_mul_u32_u24_e32 v1, 0x411, v0
	v_add_u32_sdwa v18, s6, v1 dst_sel:DWORD dst_unused:UNUSED_PAD src0_sel:DWORD src1_sel:WORD_1
	v_mov_b32_e32 v19, 0
	s_waitcnt lgkmcnt(0)
	v_cmp_gt_u64_e32 vcc, s[12:13], v[18:19]
	s_and_saveexec_b64 s[0:1], vcc
	s_cbranch_execz .LBB0_31
; %bb.1:
	s_load_dwordx4 s[0:3], s[4:5], 0x18
	s_load_dwordx2 s[12:13], s[4:5], 0x0
	v_mov_b32_e32 v2, 63
	v_mul_lo_u16_sdwa v1, v1, v2 dst_sel:DWORD dst_unused:UNUSED_PAD src0_sel:WORD_1 src1_sel:DWORD
	v_sub_u16_e32 v53, v0, v1
	s_waitcnt lgkmcnt(0)
	s_load_dwordx4 s[8:11], s[0:1], 0x0
	v_lshlrev_b32_e32 v45, 2, v53
	global_load_dword v55, v45, s[12:13]
	s_waitcnt lgkmcnt(0)
	v_mad_u64_u32 v[0:1], s[0:1], s10, v18, 0
	v_mad_u64_u32 v[2:3], s[0:1], s8, v53, 0
	;; [unrolled: 1-line block ×4, first 2 shown]
	v_mov_b32_e32 v1, v4
	v_lshlrev_b64 v[0:1], 2, v[0:1]
	v_mov_b32_e32 v6, s15
	v_mov_b32_e32 v3, v5
	v_add_co_u32_e32 v4, vcc, s14, v0
	v_addc_co_u32_e32 v5, vcc, v6, v1, vcc
	v_lshlrev_b64 v[0:1], 2, v[2:3]
	s_mul_i32 s0, s9, 0xd2
	s_mul_hi_u32 s1, s8, 0xd2
	v_add_co_u32_e32 v0, vcc, v4, v0
	s_add_i32 s1, s1, s0
	s_mul_i32 s0, s8, 0xd2
	v_addc_co_u32_e32 v1, vcc, v5, v1, vcc
	s_lshl_b64 s[14:15], s[0:1], 2
	v_mov_b32_e32 v4, s15
	v_add_co_u32_e32 v2, vcc, s14, v0
	v_addc_co_u32_e32 v3, vcc, v1, v4, vcc
	global_load_dword v5, v[0:1], off
	global_load_dword v6, v[2:3], off
	global_load_dword v54, v45, s[12:13] offset:840
	v_add_co_u32_e32 v0, vcc, s14, v2
	v_addc_co_u32_e32 v1, vcc, v3, v4, vcc
	s_mul_hi_u32 s1, s8, 0xfffffe9b
	global_load_dword v2, v[0:1], off
	global_load_dword v52, v45, s[12:13] offset:1680
	s_mul_i32 s0, s9, 0xfffffe9b
	s_sub_i32 s1, s1, s8
	s_add_i32 s1, s1, s0
	s_mul_i32 s0, s8, 0xfffffe9b
	s_lshl_b64 s[16:17], s[0:1], 2
	v_mov_b32_e32 v3, s17
	v_add_co_u32_e32 v0, vcc, s16, v0
	v_addc_co_u32_e32 v1, vcc, v1, v3, vcc
	global_load_dword v7, v[0:1], off
	global_load_dword v51, v45, s[12:13] offset:252
	v_add_co_u32_e32 v0, vcc, s14, v0
	v_addc_co_u32_e32 v1, vcc, v1, v4, vcc
	global_load_dword v8, v[0:1], off
	global_load_dword v50, v45, s[12:13] offset:1092
	;; [unrolled: 4-line block ×4, first 2 shown]
	global_load_dword v48, v45, s[12:13] offset:504
	v_add_co_u32_e32 v0, vcc, s14, v0
	v_addc_co_u32_e32 v1, vcc, v1, v4, vcc
	global_load_dword v10, v[0:1], off
	v_add_co_u32_e32 v0, vcc, s14, v0
	v_addc_co_u32_e32 v1, vcc, v1, v4, vcc
	global_load_dword v11, v[0:1], off
	global_load_dword v46, v45, s[12:13] offset:2184
	v_mov_b32_e32 v4, s13
	v_add_co_u32_e32 v16, vcc, s12, v45
	v_addc_co_u32_e32 v17, vcc, 0, v4, vcc
	s_load_dwordx2 s[6:7], s[4:5], 0x38
	s_load_dwordx4 s[8:11], s[2:3], 0x0
	v_cmp_gt_u16_e64 s[0:1], 21, v53
	s_waitcnt vmcnt(16)
	v_lshrrev_b32_e32 v4, 16, v5
	v_mul_f16_sdwa v12, v55, v5 dst_sel:DWORD dst_unused:UNUSED_PAD src0_sel:WORD_1 src1_sel:DWORD
	v_mul_f16_sdwa v13, v55, v4 dst_sel:DWORD dst_unused:UNUSED_PAD src0_sel:WORD_1 src1_sel:DWORD
	v_fma_f16 v4, v55, v4, -v12
	s_waitcnt vmcnt(15)
	v_lshrrev_b32_e32 v12, 16, v6
	v_fma_f16 v5, v55, v5, v13
	s_waitcnt vmcnt(14)
	v_mul_f16_sdwa v13, v54, v12 dst_sel:DWORD dst_unused:UNUSED_PAD src0_sel:WORD_1 src1_sel:DWORD
	v_pack_b32_f16 v4, v5, v4
	v_fma_f16 v5, v54, v6, v13
	v_mul_f16_sdwa v6, v54, v6 dst_sel:DWORD dst_unused:UNUSED_PAD src0_sel:WORD_1 src1_sel:DWORD
	v_fma_f16 v6, v54, v12, -v6
	v_pack_b32_f16 v5, v5, v6
	ds_write_b32 v45, v5 offset:840
	s_waitcnt vmcnt(13)
	v_lshrrev_b32_e32 v5, 16, v2
	s_waitcnt vmcnt(12)
	v_mul_f16_sdwa v6, v52, v5 dst_sel:DWORD dst_unused:UNUSED_PAD src0_sel:WORD_1 src1_sel:DWORD
	v_fma_f16 v6, v52, v2, v6
	v_mul_f16_sdwa v2, v52, v2 dst_sel:DWORD dst_unused:UNUSED_PAD src0_sel:WORD_1 src1_sel:DWORD
	v_fma_f16 v2, v52, v5, -v2
	v_pack_b32_f16 v2, v6, v2
	ds_write_b32 v45, v2 offset:1680
	s_waitcnt vmcnt(11)
	v_lshrrev_b32_e32 v2, 16, v7
	s_waitcnt vmcnt(10)
	v_mul_f16_sdwa v5, v51, v2 dst_sel:DWORD dst_unused:UNUSED_PAD src0_sel:WORD_1 src1_sel:DWORD
	v_mul_f16_sdwa v6, v51, v7 dst_sel:DWORD dst_unused:UNUSED_PAD src0_sel:WORD_1 src1_sel:DWORD
	v_fma_f16 v5, v51, v7, v5
	v_fma_f16 v2, v51, v2, -v6
	v_pack_b32_f16 v2, v5, v2
	ds_write2_b32 v45, v4, v2 offset1:63
	s_waitcnt vmcnt(9)
	v_lshrrev_b32_e32 v2, 16, v8
	s_waitcnt vmcnt(8)
	v_mul_f16_sdwa v4, v50, v2 dst_sel:DWORD dst_unused:UNUSED_PAD src0_sel:WORD_1 src1_sel:DWORD
	v_mul_f16_sdwa v5, v50, v8 dst_sel:DWORD dst_unused:UNUSED_PAD src0_sel:WORD_1 src1_sel:DWORD
	v_fma_f16 v4, v50, v8, v4
	v_fma_f16 v2, v50, v2, -v5
	v_pack_b32_f16 v2, v4, v2
	s_waitcnt vmcnt(7)
	v_lshrrev_b32_e32 v4, 16, v9
	s_waitcnt vmcnt(6)
	v_mul_f16_sdwa v5, v49, v4 dst_sel:DWORD dst_unused:UNUSED_PAD src0_sel:WORD_1 src1_sel:DWORD
	v_mul_f16_sdwa v6, v49, v9 dst_sel:DWORD dst_unused:UNUSED_PAD src0_sel:WORD_1 src1_sel:DWORD
	v_fma_f16 v5, v49, v9, v5
	v_fma_f16 v4, v49, v4, -v6
	v_pack_b32_f16 v5, v5, v4
	s_waitcnt vmcnt(5)
	v_lshrrev_b32_e32 v4, 16, v3
	s_waitcnt vmcnt(3)
	v_mul_f16_sdwa v6, v48, v4 dst_sel:DWORD dst_unused:UNUSED_PAD src0_sel:WORD_1 src1_sel:DWORD
	v_fma_f16 v6, v48, v3, v6
	v_mul_f16_sdwa v3, v48, v3 dst_sel:DWORD dst_unused:UNUSED_PAD src0_sel:WORD_1 src1_sel:DWORD
	v_fma_f16 v3, v48, v4, -v3
	v_pack_b32_f16 v3, v6, v3
	ds_write_b32 v45, v3 offset:504
	s_waitcnt vmcnt(2)
	v_lshrrev_b32_e32 v3, 16, v10
	v_mul_f16_sdwa v4, v47, v3 dst_sel:DWORD dst_unused:UNUSED_PAD src0_sel:WORD_1 src1_sel:DWORD
	v_mul_f16_sdwa v6, v47, v10 dst_sel:DWORD dst_unused:UNUSED_PAD src0_sel:WORD_1 src1_sel:DWORD
	v_fma_f16 v4, v47, v10, v4
	v_fma_f16 v3, v47, v3, -v6
	v_pack_b32_f16 v3, v4, v3
	v_add_u32_e32 v4, 0x400, v45
	ds_write2_b32 v4, v2, v3 offset0:17 offset1:80
	s_waitcnt vmcnt(1)
	v_lshrrev_b32_e32 v2, 16, v11
	s_waitcnt vmcnt(0)
	v_mul_f16_sdwa v3, v46, v2 dst_sel:DWORD dst_unused:UNUSED_PAD src0_sel:WORD_1 src1_sel:DWORD
	v_mul_f16_sdwa v6, v46, v11 dst_sel:DWORD dst_unused:UNUSED_PAD src0_sel:WORD_1 src1_sel:DWORD
	v_fma_f16 v3, v46, v11, v3
	v_fma_f16 v2, v46, v2, -v6
	v_pack_b32_f16 v2, v3, v2
	v_add_u32_e32 v3, 0x600, v45
	ds_write2_b32 v3, v5, v2 offset0:99 offset1:162
	s_and_saveexec_b64 s[2:3], s[0:1]
	s_cbranch_execz .LBB0_3
; %bb.2:
	v_mov_b32_e32 v2, s17
	v_add_co_u32_e32 v0, vcc, s16, v0
	v_addc_co_u32_e32 v1, vcc, v1, v2, vcc
	global_load_dword v2, v[0:1], off
	global_load_dword v3, v[16:17], off offset:756
	v_mov_b32_e32 v5, s15
	v_add_co_u32_e32 v0, vcc, s14, v0
	v_addc_co_u32_e32 v1, vcc, v1, v5, vcc
	global_load_dword v6, v[0:1], off
	global_load_dword v7, v[16:17], off offset:1596
	v_add_co_u32_e32 v0, vcc, s14, v0
	v_addc_co_u32_e32 v1, vcc, v1, v5, vcc
	global_load_dword v5, v[0:1], off
	global_load_dword v8, v[16:17], off offset:2436
	v_add_u32_e32 v0, 0x280, v45
	s_waitcnt vmcnt(5)
	v_lshrrev_b32_e32 v1, 16, v2
	s_waitcnt vmcnt(4)
	v_mul_f16_sdwa v9, v3, v2 dst_sel:DWORD dst_unused:UNUSED_PAD src0_sel:WORD_1 src1_sel:DWORD
	v_mul_f16_sdwa v10, v3, v1 dst_sel:DWORD dst_unused:UNUSED_PAD src0_sel:WORD_1 src1_sel:DWORD
	v_fma_f16 v1, v3, v1, -v9
	v_fma_f16 v2, v3, v2, v10
	v_pack_b32_f16 v1, v2, v1
	s_waitcnt vmcnt(3)
	v_lshrrev_b32_e32 v9, 16, v6
	s_waitcnt vmcnt(2)
	v_mul_f16_sdwa v11, v7, v6 dst_sel:DWORD dst_unused:UNUSED_PAD src0_sel:WORD_1 src1_sel:DWORD
	v_mul_f16_sdwa v3, v7, v9 dst_sel:DWORD dst_unused:UNUSED_PAD src0_sel:WORD_1 src1_sel:DWORD
	v_fma_f16 v9, v7, v9, -v11
	v_fma_f16 v2, v7, v6, v3
	s_waitcnt vmcnt(1)
	v_lshrrev_b32_e32 v10, 16, v5
	s_waitcnt vmcnt(0)
	v_mul_f16_sdwa v11, v8, v5 dst_sel:DWORD dst_unused:UNUSED_PAD src0_sel:WORD_1 src1_sel:DWORD
	v_mul_f16_sdwa v3, v8, v10 dst_sel:DWORD dst_unused:UNUSED_PAD src0_sel:WORD_1 src1_sel:DWORD
	v_fma_f16 v6, v8, v10, -v11
	v_pack_b32_f16 v2, v2, v9
	v_fma_f16 v3, v8, v5, v3
	ds_write2_b32 v0, v1, v2 offset0:29 offset1:239
	v_pack_b32_f16 v0, v3, v6
	ds_write_b32 v45, v0 offset:2436
.LBB0_3:
	s_or_b64 exec, exec, s[2:3]
	s_waitcnt lgkmcnt(0)
	; wave barrier
	s_waitcnt lgkmcnt(0)
	ds_read2_b32 v[6:7], v45 offset1:63
	ds_read2_b32 v[2:3], v45 offset0:126 offset1:210
	ds_read2_b32 v[8:9], v4 offset0:164 offset1:227
	;; [unrolled: 1-line block ×3, first 2 shown]
	ds_read_b32 v12, v45 offset:2184
                                        ; implicit-def: $vgpr1
                                        ; implicit-def: $vgpr11
	s_and_saveexec_b64 s[2:3], s[0:1]
	s_cbranch_execz .LBB0_5
; %bb.4:
	v_add_u32_e32 v0, 0x280, v45
	ds_read2_b32 v[10:11], v0 offset0:29 offset1:239
	ds_read_b32 v1, v45 offset:2436
.LBB0_5:
	s_or_b64 exec, exec, s[2:3]
	s_waitcnt lgkmcnt(0)
	v_pk_add_f16 v21, v11, v1
	v_pk_add_f16 v0, v11, v10
	v_pk_fma_f16 v10, v21, 0.5, v10 op_sel_hi:[1,0,1] neg_lo:[1,0,0] neg_hi:[1,0,0]
	v_pk_add_f16 v21, v11, v1 neg_lo:[0,1] neg_hi:[0,1]
	s_movk_i32 s2, 0x3aee
	v_pk_fma_f16 v11, v21, s2, v10 op_sel:[0,0,1] op_sel_hi:[1,0,0]
	v_pk_fma_f16 v10, v21, s2, v10 op_sel:[0,0,1] op_sel_hi:[1,0,0] neg_lo:[1,0,0] neg_hi:[1,0,0]
	v_mul_lo_u16_e32 v21, 3, v53
	v_pk_add_f16 v15, v6, v3
	v_lshlrev_b32_e32 v57, 2, v21
	v_pk_add_f16 v21, v3, v8
	v_pk_add_f16 v3, v3, v8 neg_lo:[0,1] neg_hi:[0,1]
	v_pk_fma_f16 v6, v21, 0.5, v6 op_sel_hi:[1,0,1] neg_lo:[1,0,0] neg_hi:[1,0,0]
	v_pk_mul_f16 v3, v3, s2 op_sel_hi:[1,0]
	v_pk_add_f16 v15, v15, v8
	v_pk_add_f16 v8, v6, v3 op_sel:[0,1] op_sel_hi:[1,0]
	v_pk_add_f16 v3, v6, v3 op_sel:[0,1] op_sel_hi:[1,0] neg_lo:[0,1] neg_hi:[0,1]
	s_mov_b32 s3, 0xffff
	v_bfi_b32 v6, s3, v8, v3
	v_pk_add_f16 v19, v7, v4
	s_waitcnt lgkmcnt(0)
	; wave barrier
	ds_write2_b32 v57, v15, v6 offset1:1
	v_pk_add_f16 v6, v4, v9
	v_pk_add_f16 v4, v4, v9 neg_lo:[0,1] neg_hi:[0,1]
	v_add_co_u32_e32 v27, vcc, 63, v53
	v_bfi_b32 v3, s3, v3, v8
	v_pk_fma_f16 v6, v6, 0.5, v7 op_sel_hi:[1,0,1] neg_lo:[1,0,0] neg_hi:[1,0,0]
	v_pk_mul_f16 v4, v4, s2 op_sel_hi:[1,0]
	ds_write_b32 v57, v3 offset:8
	v_mul_u32_u24_e32 v3, 3, v27
	v_pk_add_f16 v7, v6, v4 op_sel:[0,1] op_sel_hi:[1,0]
	v_pk_add_f16 v4, v6, v4 op_sel:[0,1] op_sel_hi:[1,0] neg_lo:[0,1] neg_hi:[0,1]
	v_lshlrev_b32_e32 v58, 2, v3
	v_pk_add_f16 v3, v19, v9
	v_bfi_b32 v6, s3, v7, v4
	s_load_dwordx2 s[4:5], s[4:5], 0x8
	ds_write2_b32 v58, v3, v6 offset1:1
	v_bfi_b32 v3, s3, v4, v7
	v_pk_add_f16 v4, v5, v12
	v_pk_add_f16 v20, v2, v5
	v_pk_fma_f16 v2, v4, 0.5, v2 op_sel_hi:[1,0,1] neg_lo:[1,0,0] neg_hi:[1,0,0]
	v_pk_add_f16 v4, v5, v12 neg_lo:[0,1] neg_hi:[0,1]
	v_add_co_u32_e32 v14, vcc, 0x7e, v53
	v_pk_mul_f16 v4, v4, s2 op_sel_hi:[1,0]
	v_add_co_u32_e32 v13, vcc, 0xbd, v53
	ds_write_b32 v58, v3 offset:8
	v_mul_u32_u24_e32 v3, 3, v14
	v_pk_add_f16 v5, v2, v4 op_sel:[0,1] op_sel_hi:[1,0]
	v_pk_add_f16 v2, v2, v4 op_sel:[0,1] op_sel_hi:[1,0] neg_lo:[0,1] neg_hi:[0,1]
	v_pk_add_f16 v0, v1, v0
	v_lshrrev_b32_e32 v1, 16, v11
	v_lshlrev_b32_e32 v59, 2, v3
	v_pk_add_f16 v3, v20, v12
	v_bfi_b32 v4, s3, v5, v2
	v_bfi_b32 v2, s3, v2, v5
	v_mul_u32_u24_e32 v60, 3, v13
	ds_write2_b32 v59, v3, v4 offset1:1
	ds_write_b32 v59, v2 offset:8
	s_and_saveexec_b64 s[2:3], s[0:1]
	s_cbranch_execz .LBB0_7
; %bb.6:
	s_mov_b32 s14, 0x5040100
	v_lshlrev_b32_e32 v2, 2, v60
	v_perm_b32 v3, v10, v1, s14
	v_alignbit_b32 v4, v11, v10, 16
	ds_write_b32 v2, v0
	ds_write2_b32 v2, v3, v4 offset0:1 offset1:2
.LBB0_7:
	s_or_b64 exec, exec, s[2:3]
	v_add_u32_e32 v8, 0x400, v45
	s_waitcnt lgkmcnt(0)
	; wave barrier
	s_waitcnt lgkmcnt(0)
	ds_read2_b32 v[4:5], v45 offset1:63
	ds_read2_b32 v[2:3], v45 offset0:126 offset1:210
	ds_read2_b32 v[6:7], v8 offset0:164 offset1:227
	;; [unrolled: 1-line block ×3, first 2 shown]
	ds_read_b32 v12, v45 offset:2184
	s_and_saveexec_b64 s[2:3], s[0:1]
	s_cbranch_execz .LBB0_9
; %bb.8:
	v_add_u32_e32 v0, 0x280, v45
	ds_read_b32 v10, v45 offset:2436
	ds_read2_b32 v[0:1], v0 offset0:29 offset1:239
	s_waitcnt lgkmcnt(1)
	v_lshrrev_b32_e32 v11, 16, v10
	s_waitcnt lgkmcnt(0)
	v_alignbit_b32 v10, v10, v1, 16
.LBB0_9:
	s_or_b64 exec, exec, s[2:3]
	s_movk_i32 s2, 0xab
	v_mul_lo_u16_sdwa v15, v53, s2 dst_sel:DWORD dst_unused:UNUSED_PAD src0_sel:BYTE_0 src1_sel:DWORD
	v_mul_lo_u16_sdwa v21, v14, s2 dst_sel:DWORD dst_unused:UNUSED_PAD src0_sel:BYTE_0 src1_sel:DWORD
	v_lshrrev_b16_e32 v15, 9, v15
	v_lshrrev_b16_e32 v31, 9, v21
	v_mul_lo_u16_e32 v19, 3, v15
	v_mul_lo_u16_e32 v21, 3, v31
	v_sub_u16_e32 v19, v53, v19
	v_sub_u16_e32 v14, v14, v21
	v_and_b32_e32 v28, 0xff, v19
	v_and_b32_e32 v14, 0xff, v14
	v_mul_lo_u16_sdwa v22, v13, s2 dst_sel:DWORD dst_unused:UNUSED_PAD src0_sel:BYTE_0 src1_sel:DWORD
	v_lshlrev_b32_e32 v19, 3, v28
	v_lshlrev_b32_e32 v21, 3, v14
	v_lshrrev_b16_e32 v34, 9, v22
	global_load_dwordx2 v[23:24], v19, s[4:5]
	global_load_dwordx2 v[25:26], v21, s[4:5]
	v_mul_lo_u16_e32 v21, 3, v34
	v_mul_lo_u16_sdwa v20, v27, s2 dst_sel:DWORD dst_unused:UNUSED_PAD src0_sel:BYTE_0 src1_sel:DWORD
	v_sub_u16_e32 v13, v13, v21
	v_lshrrev_b16_e32 v29, 9, v20
	v_and_b32_e32 v56, 0xff, v13
	v_mul_lo_u16_e32 v20, 3, v29
	v_lshlrev_b32_e32 v13, 3, v56
	v_sub_u16_e32 v20, v27, v20
	global_load_dwordx2 v[21:22], v13, s[4:5]
	v_and_b32_e32 v30, 0xff, v20
	v_lshlrev_b32_e32 v20, 3, v30
	global_load_dwordx2 v[19:20], v20, s[4:5]
	s_waitcnt lgkmcnt(3)
	v_lshrrev_b32_e32 v13, 16, v3
	s_waitcnt lgkmcnt(2)
	v_lshrrev_b32_e32 v32, 16, v6
	v_mul_u32_u24_e32 v15, 9, v15
	v_lshrrev_b32_e32 v39, 16, v10
	v_add_lshl_u32 v61, v15, v28, 2
	v_lshrrev_b32_e32 v33, 16, v4
	s_movk_i32 s2, 0x3aee
	s_mov_b32 s3, 0xbaee
	s_waitcnt lgkmcnt(1)
	v_lshrrev_b32_e32 v36, 16, v8
	v_lshrrev_b32_e32 v35, 16, v7
	v_lshrrev_b32_e32 v37, 16, v9
	s_waitcnt lgkmcnt(0)
	v_lshrrev_b32_e32 v38, 16, v12
	v_lshrrev_b32_e32 v40, 16, v5
	s_waitcnt lgkmcnt(0)
	; wave barrier
	s_waitcnt vmcnt(3)
	v_mul_f16_sdwa v15, v3, v23 dst_sel:DWORD dst_unused:UNUSED_PAD src0_sel:DWORD src1_sel:WORD_1
	v_mul_f16_sdwa v28, v13, v23 dst_sel:DWORD dst_unused:UNUSED_PAD src0_sel:DWORD src1_sel:WORD_1
	;; [unrolled: 1-line block ×4, first 2 shown]
	v_fma_f16 v13, v13, v23, v15
	v_fma_f16 v15, v32, v24, v41
	v_fma_f16 v28, v3, v23, -v28
	v_fma_f16 v32, v6, v24, -v42
	v_sub_f16_e32 v41, v13, v15
	v_add_f16_e32 v42, v33, v13
	s_waitcnt vmcnt(1)
	v_mul_f16_sdwa v68, v11, v22 dst_sel:DWORD dst_unused:UNUSED_PAD src0_sel:DWORD src1_sel:WORD_1
	v_mul_f16_sdwa v69, v39, v22 dst_sel:DWORD dst_unused:UNUSED_PAD src0_sel:DWORD src1_sel:WORD_1
	v_fma_f16 v3, v39, v22, -v68
	v_fma_f16 v6, v11, v22, v69
	v_add_f16_e32 v11, v4, v28
	v_add_f16_e32 v39, v28, v32
	;; [unrolled: 1-line block ×3, first 2 shown]
	v_sub_f16_e32 v28, v28, v32
	v_add_f16_e32 v11, v11, v32
	v_add_f16_e32 v15, v42, v15
	v_fma_f16 v13, v13, -0.5, v33
	v_fma_f16 v4, v39, -0.5, v4
	s_waitcnt vmcnt(0)
	v_mul_f16_sdwa v44, v7, v20 dst_sel:DWORD dst_unused:UNUSED_PAD src0_sel:DWORD src1_sel:WORD_1
	v_mul_f16_sdwa v62, v36, v19 dst_sel:DWORD dst_unused:UNUSED_PAD src0_sel:DWORD src1_sel:WORD_1
	v_mul_f16_sdwa v64, v8, v19 dst_sel:DWORD dst_unused:UNUSED_PAD src0_sel:DWORD src1_sel:WORD_1
	v_pack_b32_f16 v11, v11, v15
	v_fma_f16 v15, v41, s2, v4
	v_fma_f16 v32, v28, s3, v13
	v_mul_f16_sdwa v43, v35, v20 dst_sel:DWORD dst_unused:UNUSED_PAD src0_sel:DWORD src1_sel:WORD_1
	v_fma_f16 v8, v8, v19, -v62
	v_fma_f16 v36, v36, v19, v64
	v_fma_f16 v35, v35, v20, v44
	v_pack_b32_f16 v15, v15, v32
	v_mul_f16_sdwa v63, v37, v25 dst_sel:DWORD dst_unused:UNUSED_PAD src0_sel:DWORD src1_sel:WORD_1
	v_mul_f16_sdwa v66, v38, v26 dst_sel:DWORD dst_unused:UNUSED_PAD src0_sel:DWORD src1_sel:WORD_1
	v_fma_f16 v7, v7, v20, -v43
	v_add_f16_e32 v44, v5, v8
	ds_write2_b32 v61, v11, v15 offset1:3
	v_add_f16_e32 v15, v36, v35
	v_mul_f16_sdwa v65, v9, v25 dst_sel:DWORD dst_unused:UNUSED_PAD src0_sel:DWORD src1_sel:WORD_1
	v_mul_f16_sdwa v67, v12, v26 dst_sel:DWORD dst_unused:UNUSED_PAD src0_sel:DWORD src1_sel:WORD_1
	v_fma_f16 v9, v9, v25, -v63
	v_fma_f16 v12, v12, v26, -v66
	v_add_f16_e32 v43, v8, v7
	v_fma_f16 v15, v15, -0.5, v40
	v_add_f16_e32 v32, v44, v7
	v_sub_f16_e32 v7, v8, v7
	v_fma_f16 v37, v37, v25, v65
	v_fma_f16 v38, v38, v26, v67
	v_add_f16_e32 v11, v40, v36
	v_fma_f16 v8, v7, s3, v15
	v_fma_f16 v7, v7, s2, v15
	v_add_f16_e32 v15, v9, v12
	v_sub_f16_e32 v62, v36, v35
	v_add_f16_e32 v11, v11, v35
	v_fma_f16 v15, v15, -0.5, v2
	v_lshrrev_b32_e32 v33, 16, v2
	v_sub_f16_e32 v35, v37, v38
	v_add_f16_e32 v2, v2, v9
	v_fma_f16 v36, v35, s2, v15
	v_fma_f16 v15, v35, s3, v15
	v_add_f16_e32 v35, v33, v37
	v_add_f16_e32 v37, v37, v38
	v_fma_f16 v4, v41, s3, v4
	v_fma_f16 v13, v28, s2, v13
	v_fma_f16 v33, v37, -0.5, v33
	v_add_f16_e32 v37, v2, v12
	v_sub_f16_e32 v2, v9, v12
	v_fma_f16 v9, v2, s3, v33
	v_fma_f16 v12, v2, s2, v33
	v_pack_b32_f16 v2, v4, v13
	ds_write_b32 v61, v2 offset:24
	v_mul_u32_u24_e32 v2, 9, v29
	v_fma_f16 v5, v43, -0.5, v5
	v_add_lshl_u32 v63, v2, v30, 2
	v_mul_f16_sdwa v2, v1, v21 dst_sel:DWORD dst_unused:UNUSED_PAD src0_sel:DWORD src1_sel:WORD_1
	v_fma_f16 v28, v62, s2, v5
	v_fma_f16 v5, v62, s3, v5
	;; [unrolled: 1-line block ×3, first 2 shown]
	v_mul_f16_sdwa v10, v10, v21 dst_sel:DWORD dst_unused:UNUSED_PAD src0_sel:DWORD src1_sel:WORD_1
	v_pack_b32_f16 v4, v32, v11
	v_pack_b32_f16 v8, v28, v8
	v_fma_f16 v1, v1, v21, -v10
	v_pack_b32_f16 v5, v5, v7
	ds_write2_b32 v63, v4, v8 offset1:3
	v_add_f16_e32 v8, v2, v6
	v_lshrrev_b32_e32 v4, 16, v0
	ds_write_b32 v63, v5 offset:24
	v_add_f16_e32 v5, v1, v3
	v_mul_u32_u24_e32 v7, 9, v31
	v_add_f16_e32 v35, v35, v38
	v_fma_f16 v8, v8, -0.5, v4
	v_sub_f16_e32 v10, v1, v3
	v_fma_f16 v5, v5, -0.5, v0
	v_add_lshl_u32 v65, v7, v14, 2
	v_sub_f16_e32 v7, v2, v6
	v_fma_f16 v43, v10, s3, v8
	v_fma_f16 v44, v10, s2, v8
	v_pack_b32_f16 v8, v37, v35
	v_pack_b32_f16 v9, v36, v9
	v_fma_f16 v32, v7, s2, v5
	v_fma_f16 v33, v7, s3, v5
	v_pack_b32_f16 v5, v15, v12
	v_mul_u32_u24_e32 v64, 9, v34
	ds_write2_b32 v65, v8, v9 offset1:3
	ds_write_b32 v65, v5 offset:24
	s_and_saveexec_b64 s[2:3], s[0:1]
	s_cbranch_execz .LBB0_11
; %bb.10:
	v_add_f16_e32 v2, v4, v2
	v_add_f16_e32 v0, v0, v1
	;; [unrolled: 1-line block ×4, first 2 shown]
	s_mov_b32 s14, 0x5040100
	v_add_lshl_u32 v1, v64, v56, 2
	v_pack_b32_f16 v0, v0, v2
	v_perm_b32 v2, v43, v32, s14
	ds_write2_b32 v1, v0, v2 offset1:3
	v_perm_b32 v0, v44, v33, s14
	ds_write_b32 v1, v0 offset:24
.LBB0_11:
	s_or_b64 exec, exec, s[2:3]
	v_mov_b32_e32 v41, 57
	v_mul_lo_u16_sdwa v0, v53, v41 dst_sel:DWORD dst_unused:UNUSED_PAD src0_sel:BYTE_0 src1_sel:DWORD
	v_lshrrev_b16_e32 v42, 9, v0
	v_mul_lo_u16_e32 v0, 9, v42
	v_sub_u16_e32 v0, v53, v0
	v_and_b32_e32 v62, 0xff, v0
	v_lshlrev_b32_e32 v0, 4, v62
	s_waitcnt lgkmcnt(0)
	; wave barrier
	s_waitcnt lgkmcnt(0)
	global_load_dwordx4 v[0:3], v0, s[4:5] offset:24
	ds_read2_b32 v[12:13], v45 offset0:126 offset1:189
	v_add_u32_e32 v9, 0x200, v45
	ds_read2_b32 v[14:15], v9 offset0:124 offset1:187
	v_add_u32_e32 v39, 0x400, v45
	ds_read2_b32 v[28:29], v39 offset0:122 offset1:185
	s_waitcnt lgkmcnt(2)
	v_lshrrev_b32_e32 v4, 16, v12
	v_add_u32_e32 v8, 0x600, v45
	ds_read2_b32 v[30:31], v8 offset0:120 offset1:183
	s_waitcnt lgkmcnt(2)
	v_lshrrev_b32_e32 v5, 16, v14
	s_waitcnt lgkmcnt(1)
	v_lshrrev_b32_e32 v6, 16, v28
	v_lshrrev_b32_e32 v35, 16, v13
	ds_read2_b32 v[10:11], v45 offset1:63
	s_waitcnt lgkmcnt(1)
	v_lshrrev_b32_e32 v7, 16, v30
	v_lshrrev_b32_e32 v36, 16, v15
	;; [unrolled: 1-line block ×4, first 2 shown]
	s_movk_i32 s2, 0x3b9c
	s_mov_b32 s15, 0xbb9c
	s_movk_i32 s3, 0x38b4
	s_mov_b32 s16, 0xb8b4
	s_movk_i32 s14, 0x34f2
	s_waitcnt lgkmcnt(0)
	v_lshrrev_b32_e32 v34, 16, v10
	v_lshrrev_b32_e32 v37, 16, v11
	v_cmp_gt_u16_e32 vcc, 27, v53
	s_waitcnt vmcnt(0)
	v_mul_f16_sdwa v66, v4, v0 dst_sel:DWORD dst_unused:UNUSED_PAD src0_sel:DWORD src1_sel:WORD_1
	v_fma_f16 v66, v12, v0, -v66
	v_mul_f16_sdwa v12, v12, v0 dst_sel:DWORD dst_unused:UNUSED_PAD src0_sel:DWORD src1_sel:WORD_1
	v_fma_f16 v12, v4, v0, v12
	v_mul_f16_sdwa v4, v5, v1 dst_sel:DWORD dst_unused:UNUSED_PAD src0_sel:DWORD src1_sel:WORD_1
	v_fma_f16 v67, v14, v1, -v4
	v_mul_f16_sdwa v4, v14, v1 dst_sel:DWORD dst_unused:UNUSED_PAD src0_sel:DWORD src1_sel:WORD_1
	v_fma_f16 v14, v5, v1, v4
	;; [unrolled: 4-line block ×4, first 2 shown]
	v_mul_lo_u16_sdwa v4, v27, v41 dst_sel:DWORD dst_unused:UNUSED_PAD src0_sel:BYTE_0 src1_sel:DWORD
	v_lshrrev_b16_e32 v41, 9, v4
	v_mul_lo_u16_e32 v4, 9, v41
	v_sub_u16_e32 v4, v27, v4
	v_and_b32_e32 v72, 0xff, v4
	v_lshlrev_b32_e32 v4, 4, v72
	global_load_dwordx4 v[4:7], v4, s[4:5] offset:24
	v_sub_f16_e32 v75, v14, v28
	v_sub_f16_e32 v76, v66, v67
	;; [unrolled: 1-line block ×3, first 2 shown]
	v_add_f16_e32 v76, v76, v77
	v_sub_f16_e32 v78, v68, v69
	s_waitcnt lgkmcnt(0)
	; wave barrier
	s_waitcnt vmcnt(0)
	v_mul_f16_sdwa v70, v35, v4 dst_sel:DWORD dst_unused:UNUSED_PAD src0_sel:DWORD src1_sel:WORD_1
	v_fma_f16 v70, v13, v4, -v70
	v_mul_f16_sdwa v13, v13, v4 dst_sel:DWORD dst_unused:UNUSED_PAD src0_sel:DWORD src1_sel:WORD_1
	v_fma_f16 v13, v35, v4, v13
	v_mul_f16_sdwa v35, v36, v5 dst_sel:DWORD dst_unused:UNUSED_PAD src0_sel:DWORD src1_sel:WORD_1
	v_fma_f16 v71, v15, v5, -v35
	v_mul_f16_sdwa v35, v38, v6 dst_sel:DWORD dst_unused:UNUSED_PAD src0_sel:DWORD src1_sel:WORD_1
	v_fma_f16 v73, v29, v6, -v35
	v_mul_f16_sdwa v29, v29, v6 dst_sel:DWORD dst_unused:UNUSED_PAD src0_sel:DWORD src1_sel:WORD_1
	v_mul_f16_sdwa v35, v40, v7 dst_sel:DWORD dst_unused:UNUSED_PAD src0_sel:DWORD src1_sel:WORD_1
	v_fma_f16 v29, v38, v6, v29
	v_fma_f16 v38, v31, v7, -v35
	v_mul_f16_sdwa v31, v31, v7 dst_sel:DWORD dst_unused:UNUSED_PAD src0_sel:DWORD src1_sel:WORD_1
	v_fma_f16 v40, v40, v7, v31
	v_add_f16_e32 v31, v10, v66
	v_add_f16_e32 v31, v31, v67
	;; [unrolled: 1-line block ×5, first 2 shown]
	v_mul_f16_sdwa v15, v15, v5 dst_sel:DWORD dst_unused:UNUSED_PAD src0_sel:DWORD src1_sel:WORD_1
	v_fma_f16 v31, v31, -0.5, v10
	v_sub_f16_e32 v35, v12, v30
	v_fma_f16 v15, v36, v5, v15
	v_fma_f16 v36, v35, s2, v31
	;; [unrolled: 1-line block ×7, first 2 shown]
	v_add_f16_e32 v31, v66, v69
	v_fma_f16 v10, v31, -0.5, v10
	v_fma_f16 v31, v75, s15, v10
	v_sub_f16_e32 v36, v67, v66
	v_fma_f16 v31, v35, s3, v31
	v_add_f16_e32 v36, v36, v78
	v_fma_f16 v78, v36, s14, v31
	v_add_f16_e32 v31, v34, v12
	v_add_f16_e32 v31, v31, v14
	;; [unrolled: 1-line block ×3, first 2 shown]
	v_fma_f16 v10, v75, s2, v10
	v_add_f16_e32 v75, v31, v30
	v_add_f16_e32 v31, v14, v28
	v_fma_f16 v10, v35, s16, v10
	v_fma_f16 v31, v31, -0.5, v34
	v_sub_f16_e32 v35, v66, v69
	v_fma_f16 v10, v36, s14, v10
	v_fma_f16 v36, v35, s15, v31
	v_sub_f16_e32 v66, v67, v68
	v_sub_f16_e32 v67, v12, v14
	;; [unrolled: 1-line block ×3, first 2 shown]
	v_fma_f16 v31, v35, s2, v31
	v_fma_f16 v36, v66, s16, v36
	v_add_f16_e32 v67, v67, v68
	v_fma_f16 v31, v66, s3, v31
	v_fma_f16 v69, v67, s14, v36
	;; [unrolled: 1-line block ×3, first 2 shown]
	v_add_f16_e32 v31, v12, v30
	v_fma_f16 v31, v31, -0.5, v34
	v_fma_f16 v34, v66, s2, v31
	v_sub_f16_e32 v12, v14, v12
	v_sub_f16_e32 v14, v28, v30
	v_fma_f16 v34, v35, s16, v34
	v_add_f16_e32 v12, v12, v14
	v_add_f16_e32 v30, v71, v73
	v_fma_f16 v14, v12, s14, v34
	v_fma_f16 v28, v66, s15, v31
	v_fma_f16 v30, v30, -0.5, v11
	v_sub_f16_e32 v34, v13, v40
	v_fma_f16 v28, v35, s3, v28
	v_fma_f16 v31, v34, s2, v30
	v_sub_f16_e32 v36, v15, v29
	v_sub_f16_e32 v35, v70, v71
	;; [unrolled: 1-line block ×3, first 2 shown]
	v_fma_f16 v30, v34, s15, v30
	v_fma_f16 v31, v36, s3, v31
	v_add_f16_e32 v35, v35, v66
	v_fma_f16 v30, v36, s16, v30
	v_fma_f16 v79, v35, s14, v31
	;; [unrolled: 1-line block ×3, first 2 shown]
	v_add_f16_e32 v30, v70, v38
	v_fma_f16 v12, v12, s14, v28
	v_add_f16_e32 v28, v11, v70
	v_fma_f16 v11, v30, -0.5, v11
	v_fma_f16 v30, v36, s15, v11
	v_sub_f16_e32 v35, v71, v70
	v_sub_f16_e32 v66, v73, v38
	v_fma_f16 v30, v34, s3, v30
	v_add_f16_e32 v66, v35, v66
	v_add_f16_e32 v28, v28, v71
	v_fma_f16 v35, v66, s14, v30
	v_fma_f16 v11, v36, s2, v11
	v_add_f16_e32 v30, v15, v29
	v_add_f16_e32 v28, v28, v73
	v_fma_f16 v11, v34, s16, v11
	v_fma_f16 v30, v30, -0.5, v37
	v_sub_f16_e32 v34, v70, v38
	v_add_f16_e32 v28, v28, v38
	v_fma_f16 v36, v66, s14, v11
	v_fma_f16 v38, v34, s15, v30
	v_sub_f16_e32 v66, v71, v73
	v_sub_f16_e32 v68, v13, v15
	;; [unrolled: 1-line block ×3, first 2 shown]
	v_fma_f16 v30, v34, s2, v30
	v_add_f16_e32 v68, v68, v70
	v_fma_f16 v30, v66, s3, v30
	v_add_f16_e32 v11, v37, v13
	;; [unrolled: 2-line block ×3, first 2 shown]
	v_add_f16_e32 v11, v11, v15
	v_fma_f16 v30, v30, -0.5, v37
	v_sub_f16_e32 v13, v15, v13
	v_sub_f16_e32 v15, v29, v40
	v_fma_f16 v37, v66, s2, v30
	v_add_f16_e32 v13, v13, v15
	v_fma_f16 v15, v66, s15, v30
	v_fma_f16 v38, v66, s16, v38
	;; [unrolled: 1-line block ×7, first 2 shown]
	v_mul_u32_u24_e32 v13, 45, v42
	v_add_lshl_u32 v66, v13, v62, 2
	v_pack_b32_f16 v13, v74, v75
	v_pack_b32_f16 v15, v77, v69
	ds_write2_b32 v66, v13, v15 offset1:9
	v_pack_b32_f16 v13, v78, v14
	v_pack_b32_f16 v10, v10, v12
	v_add_f16_e32 v11, v11, v29
	ds_write2_b32 v66, v13, v10 offset0:18 offset1:27
	v_pack_b32_f16 v10, v76, v67
	v_add_f16_e32 v11, v11, v40
	ds_write_b32 v66, v10 offset:144
	v_mul_u32_u24_e32 v10, 45, v41
	v_add_lshl_u32 v67, v10, v72, 2
	v_pack_b32_f16 v10, v28, v11
	v_pack_b32_f16 v11, v79, v38
	ds_write2_b32 v67, v10, v11 offset1:9
	v_pack_b32_f16 v10, v35, v68
	v_pack_b32_f16 v11, v36, v71
	ds_write2_b32 v67, v10, v11 offset0:18 offset1:27
	v_pack_b32_f16 v10, v31, v70
	ds_write_b32 v67, v10 offset:144
	s_waitcnt lgkmcnt(0)
	; wave barrier
	s_waitcnt lgkmcnt(0)
	ds_read2_b32 v[37:38], v45 offset1:90
	ds_read2_b32 v[41:42], v9 offset0:52 offset1:142
	ds_read2_b32 v[39:40], v39 offset0:104 offset1:194
	ds_read_b32 v75, v45 offset:2160
                                        ; implicit-def: $vgpr73
                                        ; implicit-def: $vgpr72
                                        ; implicit-def: $vgpr74
	s_and_saveexec_b64 s[2:3], vcc
	s_cbranch_execz .LBB0_13
; %bb.12:
	ds_read2_b32 v[35:36], v45 offset0:63 offset1:153
	ds_read2_b32 v[31:32], v9 offset0:115 offset1:205
	;; [unrolled: 1-line block ×3, first 2 shown]
	ds_read_b32 v72, v45 offset:2412
	s_waitcnt lgkmcnt(3)
	v_lshrrev_b32_e32 v68, 16, v35
	v_lshrrev_b32_e32 v71, 16, v36
	s_waitcnt lgkmcnt(2)
	v_lshrrev_b32_e32 v70, 16, v31
	v_lshrrev_b32_e32 v43, 16, v32
	;; [unrolled: 3-line block ×3, first 2 shown]
	s_waitcnt lgkmcnt(0)
	v_lshrrev_b32_e32 v74, 16, v72
.LBB0_13:
	s_or_b64 exec, exec, s[2:3]
	v_subrev_u32_e32 v8, 45, v53
	v_cmp_gt_u16_e64 s[2:3], 45, v53
	v_cndmask_b32_e64 v79, v8, v53, s[2:3]
	v_mul_i32_i24_e32 v8, 24, v79
	v_mul_hi_i32_i24_e32 v9, 24, v79
	v_mov_b32_e32 v10, s5
	v_add_co_u32_e64 v8, s[2:3], s4, v8
	v_addc_co_u32_e64 v9, s[2:3], v10, v9, s[2:3]
	s_movk_i32 s2, 0x6d
	global_load_dwordx4 v[12:15], v[8:9], off offset:168
	global_load_dwordx2 v[29:30], v[8:9], off offset:184
	v_mul_lo_u16_sdwa v8, v27, s2 dst_sel:DWORD dst_unused:UNUSED_PAD src0_sel:BYTE_0 src1_sel:DWORD
	v_sub_u16_sdwa v9, v27, v8 dst_sel:DWORD dst_unused:UNUSED_PAD src0_sel:DWORD src1_sel:BYTE_1
	v_lshrrev_b16_e32 v9, 1, v9
	v_and_b32_e32 v9, 0x7f, v9
	v_add_u16_sdwa v8, v9, v8 dst_sel:DWORD dst_unused:UNUSED_PAD src0_sel:DWORD src1_sel:BYTE_1
	v_lshrrev_b16_e32 v8, 5, v8
	v_mul_lo_u16_e32 v8, 45, v8
	v_sub_u16_e32 v62, v27, v8
	v_and_b32_e32 v69, 0xff, v62
	v_mad_u64_u32 v[76:77], s[2:3], v69, 24, s[4:5]
	global_load_dwordx4 v[8:11], v[76:77], off offset:168
	global_load_dwordx2 v[27:28], v[76:77], off offset:184
	s_waitcnt lgkmcnt(3)
	v_lshrrev_b32_e32 v76, 16, v38
	s_waitcnt lgkmcnt(2)
	v_lshrrev_b32_e32 v77, 16, v41
	;; [unrolled: 2-line block ×4, first 2 shown]
	v_lshrrev_b32_e32 v78, 16, v42
	v_lshrrev_b32_e32 v80, 16, v39
	s_movk_i32 s2, 0x2b26
	s_movk_i32 s3, 0x3b00
	s_mov_b32 s14, 0xbcab
	s_movk_i32 s15, 0x39e0
	s_mov_b32 s16, 0xb9e0
	s_movk_i32 s17, 0x3574
	s_mov_b32 s18, 0xb574
	s_movk_i32 s19, 0x370e
	s_waitcnt lgkmcnt(0)
	; wave barrier
	s_waitcnt vmcnt(3)
	v_mul_f16_sdwa v83, v76, v12 dst_sel:DWORD dst_unused:UNUSED_PAD src0_sel:DWORD src1_sel:WORD_1
	v_mul_f16_sdwa v84, v38, v12 dst_sel:DWORD dst_unused:UNUSED_PAD src0_sel:DWORD src1_sel:WORD_1
	;; [unrolled: 1-line block ×4, first 2 shown]
	s_waitcnt vmcnt(2)
	v_mul_f16_sdwa v91, v81, v29 dst_sel:DWORD dst_unused:UNUSED_PAD src0_sel:DWORD src1_sel:WORD_1
	v_mul_f16_sdwa v92, v40, v29 dst_sel:DWORD dst_unused:UNUSED_PAD src0_sel:DWORD src1_sel:WORD_1
	;; [unrolled: 1-line block ×8, first 2 shown]
	v_fma_f16 v38, v38, v12, -v83
	v_fma_f16 v76, v76, v12, v84
	v_fma_f16 v41, v41, v13, -v85
	v_fma_f16 v77, v77, v13, v86
	v_fma_f16 v40, v40, v29, -v91
	v_fma_f16 v81, v81, v29, v92
	v_fma_f16 v75, v75, v30, -v93
	v_fma_f16 v82, v82, v30, v94
	v_fma_f16 v42, v42, v14, -v87
	v_fma_f16 v78, v78, v14, v88
	v_fma_f16 v39, v39, v15, -v89
	v_fma_f16 v80, v80, v15, v90
	v_add_f16_e32 v83, v38, v75
	v_add_f16_e32 v84, v76, v82
	v_sub_f16_e32 v38, v38, v75
	v_sub_f16_e32 v75, v76, v82
	v_add_f16_e32 v76, v41, v40
	v_add_f16_e32 v82, v77, v81
	v_sub_f16_e32 v40, v41, v40
	v_sub_f16_e32 v41, v77, v81
	;; [unrolled: 4-line block ×3, first 2 shown]
	v_add_f16_e32 v78, v76, v83
	v_add_f16_e32 v80, v82, v84
	s_waitcnt vmcnt(1)
	v_mul_f16_sdwa v87, v71, v8 dst_sel:DWORD dst_unused:UNUSED_PAD src0_sel:DWORD src1_sel:WORD_1
	v_mul_f16_sdwa v88, v36, v8 dst_sel:DWORD dst_unused:UNUSED_PAD src0_sel:DWORD src1_sel:WORD_1
	;; [unrolled: 1-line block ×4, first 2 shown]
	v_sub_f16_e32 v85, v76, v83
	v_sub_f16_e32 v86, v82, v84
	v_mul_f16_sdwa v91, v43, v10 dst_sel:DWORD dst_unused:UNUSED_PAD src0_sel:DWORD src1_sel:WORD_1
	v_fma_f16 v36, v36, v8, -v87
	v_fma_f16 v71, v71, v8, v88
	v_fma_f16 v31, v31, v9, -v89
	v_fma_f16 v70, v70, v9, v90
	v_sub_f16_e32 v83, v83, v77
	v_sub_f16_e32 v84, v84, v81
	;; [unrolled: 1-line block ×4, first 2 shown]
	v_add_f16_e32 v87, v39, v40
	v_add_f16_e32 v88, v42, v41
	v_sub_f16_e32 v89, v39, v40
	v_sub_f16_e32 v90, v42, v41
	;; [unrolled: 1-line block ×4, first 2 shown]
	v_add_f16_e32 v77, v77, v78
	v_add_f16_e32 v78, v81, v80
	v_mul_f16_sdwa v92, v32, v10 dst_sel:DWORD dst_unused:UNUSED_PAD src0_sel:DWORD src1_sel:WORD_1
	v_fma_f16 v32, v32, v10, -v91
	v_sub_f16_e32 v39, v38, v39
	v_sub_f16_e32 v42, v75, v42
	v_add_f16_e32 v38, v87, v38
	v_add_f16_e32 v75, v88, v75
	;; [unrolled: 1-line block ×3, first 2 shown]
	v_add_f16_sdwa v81, v37, v78 dst_sel:DWORD dst_unused:UNUSED_PAD src0_sel:WORD_1 src1_sel:DWORD
	v_mul_f16_e32 v37, 0x3a52, v83
	v_mul_f16_e32 v83, 0x3a52, v84
	;; [unrolled: 1-line block ×8, first 2 shown]
	s_waitcnt vmcnt(0)
	v_mul_f16_sdwa v95, v73, v27 dst_sel:DWORD dst_unused:UNUSED_PAD src0_sel:DWORD src1_sel:WORD_1
	v_mul_f16_sdwa v96, v34, v27 dst_sel:DWORD dst_unused:UNUSED_PAD src0_sel:DWORD src1_sel:WORD_1
	;; [unrolled: 1-line block ×4, first 2 shown]
	v_fma_f16 v77, v77, s14, v80
	v_fma_f16 v78, v78, s14, v81
	v_fma_f16 v76, v76, s2, v37
	v_fma_f16 v82, v82, s2, v83
	v_fma_f16 v84, v85, s15, -v84
	v_fma_f16 v87, v86, s15, -v87
	;; [unrolled: 1-line block ×4, first 2 shown]
	v_fma_f16 v85, v39, s17, v88
	v_fma_f16 v86, v42, s17, v89
	v_fma_f16 v40, v40, s3, -v88
	v_fma_f16 v41, v41, s3, -v89
	;; [unrolled: 1-line block ×4, first 2 shown]
	v_mul_f16_sdwa v93, v44, v11 dst_sel:DWORD dst_unused:UNUSED_PAD src0_sel:DWORD src1_sel:WORD_1
	v_mul_f16_sdwa v94, v33, v11 dst_sel:DWORD dst_unused:UNUSED_PAD src0_sel:DWORD src1_sel:WORD_1
	v_fma_f16 v34, v34, v27, -v95
	v_fma_f16 v73, v73, v27, v96
	v_fma_f16 v72, v72, v28, -v97
	v_fma_f16 v74, v74, v28, v98
	v_add_f16_e32 v76, v76, v77
	v_add_f16_e32 v82, v82, v78
	;; [unrolled: 1-line block ×6, first 2 shown]
	v_fma_f16 v78, v38, s19, v85
	v_fma_f16 v40, v38, s19, v40
	;; [unrolled: 1-line block ×6, first 2 shown]
	v_fma_f16 v33, v33, v11, -v93
	v_fma_f16 v44, v44, v11, v94
	v_add_f16_e32 v88, v39, v37
	v_sub_f16_e32 v89, v77, v38
	v_sub_f16_e32 v90, v84, v41
	v_add_f16_e32 v91, v40, v87
	v_add_f16_e32 v84, v41, v84
	v_sub_f16_e32 v87, v87, v40
	v_sub_f16_e32 v92, v37, v39
	v_add_f16_e32 v93, v38, v77
	v_add_f16_e32 v37, v36, v72
	;; [unrolled: 1-line block ×5, first 2 shown]
	v_sub_f16_e32 v36, v36, v72
	v_sub_f16_e32 v31, v31, v34
	;; [unrolled: 1-line block ×3, first 2 shown]
	v_add_f16_e32 v42, v32, v33
	v_add_f16_e32 v70, v43, v44
	v_sub_f16_e32 v32, v33, v32
	v_sub_f16_e32 v33, v44, v43
	v_add_f16_e32 v43, v40, v37
	v_add_f16_e32 v44, v41, v38
	v_fma_f16 v83, v75, s19, v86
	v_sub_f16_e32 v39, v71, v74
	v_sub_f16_e32 v71, v40, v37
	;; [unrolled: 1-line block ×7, first 2 shown]
	v_add_f16_e32 v73, v32, v31
	v_add_f16_e32 v74, v33, v34
	v_sub_f16_e32 v75, v32, v31
	v_sub_f16_e32 v31, v31, v36
	v_add_f16_e32 v42, v42, v43
	v_add_f16_e32 v43, v70, v44
	;; [unrolled: 1-line block ×3, first 2 shown]
	v_sub_f16_e32 v83, v76, v83
	v_sub_f16_e32 v76, v33, v34
	;; [unrolled: 1-line block ×5, first 2 shown]
	v_add_f16_e32 v44, v73, v36
	v_add_f16_e32 v70, v74, v39
	;; [unrolled: 1-line block ×4, first 2 shown]
	v_mul_f16_e32 v36, 0x3a52, v37
	v_mul_f16_e32 v37, 0x3a52, v38
	;; [unrolled: 1-line block ×7, first 2 shown]
	v_fma_f16 v42, v42, s14, v33
	v_fma_f16 v43, v43, s14, v35
	;; [unrolled: 1-line block ×3, first 2 shown]
	v_fma_f16 v38, v71, s15, -v38
	v_fma_f16 v39, v72, s15, -v39
	;; [unrolled: 1-line block ×3, first 2 shown]
	v_fma_f16 v76, v32, s17, v68
	v_fma_f16 v31, v31, s3, -v68
	v_fma_f16 v32, v32, s18, -v74
	v_sub_f16_e32 v86, v82, v78
	v_add_f16_e32 v82, v78, v82
	v_mul_f16_e32 v75, 0x3b00, v34
	v_fma_f16 v41, v41, s2, v37
	v_fma_f16 v78, v77, s17, v73
	v_fma_f16 v34, v34, s3, -v73
	v_add_f16_e32 v36, v40, v42
	v_add_f16_e32 v73, v38, v42
	;; [unrolled: 1-line block ×4, first 2 shown]
	v_fma_f16 v39, v44, s19, v76
	v_fma_f16 v71, v44, s19, v31
	;; [unrolled: 1-line block ×3, first 2 shown]
	v_mov_b32_e32 v44, 0x13b
	v_cmp_lt_u16_e64 s[2:3], 44, v53
	v_fma_f16 v72, v72, s16, -v37
	v_fma_f16 v68, v77, s18, -v75
	v_cndmask_b32_e64 v44, 0, v44, s[2:3]
	v_add_f16_e32 v37, v41, v43
	v_add_f16_e32 v41, v72, v43
	v_fma_f16 v43, v70, s19, v68
	v_add_lshl_u32 v76, v79, v44, 2
	v_pack_b32_f16 v44, v80, v81
	v_pack_b32_f16 v68, v85, v86
	ds_write2_b32 v76, v44, v68 offset1:45
	v_pack_b32_f16 v44, v88, v89
	v_pack_b32_f16 v68, v90, v91
	v_fma_f16 v40, v70, s19, v78
	v_fma_f16 v31, v70, s19, v34
	ds_write2_b32 v76, v44, v68 offset0:90 offset1:135
	v_pack_b32_f16 v44, v84, v87
	v_pack_b32_f16 v68, v92, v93
	v_sub_f16_e32 v34, v73, v31
	v_add_f16_e32 v77, v71, v74
	v_add_f16_e32 v31, v31, v73
	v_sub_f16_e32 v78, v74, v71
	v_sub_f16_e32 v32, v38, v43
	v_add_f16_e32 v73, v42, v41
	v_sub_f16_e32 v74, v36, v40
	v_add_f16_e32 v75, v39, v37
	ds_write2_b32 v76, v44, v68 offset0:180 offset1:225
	v_pack_b32_f16 v44, v83, v82
	ds_write_b32 v76, v44 offset:1080
	s_and_saveexec_b64 s[2:3], vcc
	s_cbranch_execz .LBB0_15
; %bb.14:
	v_sub_f16_e32 v37, v37, v39
	v_add_f16_e32 v36, v40, v36
	v_lshlrev_b32_e32 v39, 2, v69
	s_mov_b32 s14, 0x5040100
	v_sub_f16_e32 v41, v41, v42
	v_add_f16_e32 v38, v43, v38
	v_perm_b32 v33, v35, v33, s14
	v_pack_b32_f16 v35, v36, v37
	v_add_u32_e32 v36, 0x400, v39
	ds_write2_b32 v36, v33, v35 offset0:59 offset1:104
	v_pack_b32_f16 v33, v38, v41
	v_perm_b32 v35, v77, v34, s14
	ds_write2_b32 v36, v33, v35 offset0:149 offset1:194
	v_perm_b32 v33, v78, v31, s14
	v_perm_b32 v35, v73, v32, s14
	v_add_u32_e32 v36, 0x600, v39
	ds_write2_b32 v36, v33, v35 offset0:111 offset1:156
	v_perm_b32 v33, v75, v74, s14
	ds_write_b32 v39, v33 offset:2340
.LBB0_15:
	s_or_b64 exec, exec, s[2:3]
	s_waitcnt lgkmcnt(0)
	; wave barrier
	s_waitcnt lgkmcnt(0)
	global_load_dword v68, v45, s[4:5] offset:1248
	global_load_dword v69, v45, s[4:5] offset:1500
	;; [unrolled: 1-line block ×5, first 2 shown]
	v_add_u32_e32 v44, 0x200, v45
	ds_read2_b32 v[36:37], v45 offset1:63
	v_add_u32_e32 v35, 0x400, v45
	ds_read2_b32 v[38:39], v45 offset0:126 offset1:189
	v_add_u32_e32 v81, 0x600, v45
	ds_read2_b32 v[40:41], v44 offset0:124 offset1:187
	ds_read2_b32 v[42:43], v35 offset0:122 offset1:185
	;; [unrolled: 1-line block ×3, first 2 shown]
	s_waitcnt lgkmcnt(4)
	v_lshrrev_b32_e32 v82, 16, v36
	v_lshrrev_b32_e32 v83, 16, v37
	s_waitcnt lgkmcnt(2)
	v_lshrrev_b32_e32 v33, 16, v41
	s_waitcnt lgkmcnt(1)
	v_lshrrev_b32_e32 v86, 16, v42
	v_lshrrev_b32_e32 v87, 16, v43
	s_waitcnt lgkmcnt(0)
	v_lshrrev_b32_e32 v88, 16, v79
	v_lshrrev_b32_e32 v90, 16, v80
	v_lshrrev_b32_e32 v84, 16, v38
	v_lshrrev_b32_e32 v85, 16, v39
	v_lshrrev_b32_e32 v89, 16, v40
	s_add_u32 s2, s12, 0x9d8
	s_addc_u32 s3, s13, 0
	s_waitcnt vmcnt(4)
	v_mul_f16_sdwa v91, v33, v68 dst_sel:DWORD dst_unused:UNUSED_PAD src0_sel:DWORD src1_sel:WORD_1
	v_mul_f16_sdwa v92, v41, v68 dst_sel:DWORD dst_unused:UNUSED_PAD src0_sel:DWORD src1_sel:WORD_1
	s_waitcnt vmcnt(3)
	v_mul_f16_sdwa v93, v86, v69 dst_sel:DWORD dst_unused:UNUSED_PAD src0_sel:DWORD src1_sel:WORD_1
	v_mul_f16_sdwa v94, v42, v69 dst_sel:DWORD dst_unused:UNUSED_PAD src0_sel:DWORD src1_sel:WORD_1
	;; [unrolled: 3-line block ×5, first 2 shown]
	v_fma_f16 v41, v41, v68, -v91
	v_fma_f16 v33, v33, v68, v92
	v_fma_f16 v42, v42, v69, -v93
	v_fma_f16 v86, v86, v69, v94
	;; [unrolled: 2-line block ×5, first 2 shown]
	v_sub_f16_e32 v41, v36, v41
	v_sub_f16_e32 v91, v82, v33
	;; [unrolled: 1-line block ×10, first 2 shown]
	v_fma_f16 v36, v36, 2.0, -v41
	v_fma_f16 v80, v82, 2.0, -v91
	;; [unrolled: 1-line block ×10, first 2 shown]
	v_pack_b32_f16 v41, v41, v91
	v_pack_b32_f16 v36, v36, v80
	;; [unrolled: 1-line block ×8, first 2 shown]
	ds_write_b32 v45, v41 offset:1260
	v_pack_b32_f16 v39, v39, v84
	v_pack_b32_f16 v40, v40, v85
	ds_write2_b32 v45, v36, v37 offset1:63
	ds_write2_b32 v35, v42, v43 offset0:122 offset1:185
	ds_write2_b32 v45, v38, v39 offset0:126 offset1:189
	ds_write_b32 v45, v40 offset:1008
	ds_write2_b32 v81, v86, v87 offset0:120 offset1:183
	s_waitcnt lgkmcnt(0)
	; wave barrier
	s_waitcnt lgkmcnt(0)
	global_load_dword v38, v[16:17], off offset:2520
	global_load_dword v39, v45, s[2:3] offset:252
	global_load_dword v40, v45, s[2:3] offset:2184
	;; [unrolled: 1-line block ×8, first 2 shown]
	ds_read2_b32 v[36:37], v45 offset1:63
	ds_read_b32 v41, v45 offset:2184
	s_waitcnt lgkmcnt(1)
	v_lshrrev_b32_e32 v85, 16, v36
	v_lshrrev_b32_e32 v86, 16, v37
	s_waitcnt lgkmcnt(0)
	v_lshrrev_b32_e32 v87, 16, v41
	s_waitcnt vmcnt(7)
	v_mul_f16_sdwa v90, v86, v39 dst_sel:DWORD dst_unused:UNUSED_PAD src0_sel:DWORD src1_sel:WORD_1
	v_mul_f16_sdwa v91, v37, v39 dst_sel:DWORD dst_unused:UNUSED_PAD src0_sel:DWORD src1_sel:WORD_1
	s_waitcnt vmcnt(6)
	v_mul_f16_sdwa v92, v87, v40 dst_sel:DWORD dst_unused:UNUSED_PAD src0_sel:DWORD src1_sel:WORD_1
	v_mul_f16_sdwa v93, v41, v40 dst_sel:DWORD dst_unused:UNUSED_PAD src0_sel:DWORD src1_sel:WORD_1
	v_fma_f16 v41, v41, v40, -v92
	v_fma_f16 v40, v87, v40, v93
	v_mul_f16_sdwa v88, v85, v38 dst_sel:DWORD dst_unused:UNUSED_PAD src0_sel:DWORD src1_sel:WORD_1
	v_mul_f16_sdwa v89, v36, v38 dst_sel:DWORD dst_unused:UNUSED_PAD src0_sel:DWORD src1_sel:WORD_1
	v_fma_f16 v36, v36, v38, -v88
	v_fma_f16 v38, v85, v38, v89
	v_pack_b32_f16 v36, v36, v38
	v_fma_f16 v85, v37, v39, -v90
	v_fma_f16 v39, v86, v39, v91
	ds_write_b32 v45, v36
	ds_read2_b32 v[36:37], v45 offset0:126 offset1:210
	v_pack_b32_f16 v85, v85, v39
	ds_read2_b32 v[38:39], v35 offset0:164 offset1:227
	v_pack_b32_f16 v86, v41, v40
	ds_read2_b32 v[40:41], v35 offset0:17 offset1:80
	s_waitcnt lgkmcnt(2)
	v_lshrrev_b32_e32 v87, 16, v37
	s_waitcnt vmcnt(5)
	v_mul_f16_sdwa v88, v37, v42 dst_sel:DWORD dst_unused:UNUSED_PAD src0_sel:DWORD src1_sel:WORD_1
	s_waitcnt lgkmcnt(1)
	v_lshrrev_b32_e32 v89, 16, v38
	s_waitcnt vmcnt(4)
	v_mul_f16_sdwa v90, v38, v43 dst_sel:DWORD dst_unused:UNUSED_PAD src0_sel:DWORD src1_sel:WORD_1
	;; [unrolled: 4-line block ×3, first 2 shown]
	v_lshrrev_b32_e32 v93, 16, v39
	s_waitcnt vmcnt(2)
	v_mul_f16_sdwa v94, v39, v82 dst_sel:DWORD dst_unused:UNUSED_PAD src0_sel:DWORD src1_sel:WORD_1
	v_lshrrev_b32_e32 v95, 16, v36
	s_waitcnt vmcnt(0)
	v_mul_f16_sdwa v96, v36, v84 dst_sel:DWORD dst_unused:UNUSED_PAD src0_sel:DWORD src1_sel:WORD_1
	v_lshrrev_b32_e32 v97, 16, v41
	v_mul_f16_sdwa v99, v87, v42 dst_sel:DWORD dst_unused:UNUSED_PAD src0_sel:DWORD src1_sel:WORD_1
	v_fma_f16 v87, v87, v42, v88
	v_mul_f16_sdwa v88, v89, v43 dst_sel:DWORD dst_unused:UNUSED_PAD src0_sel:DWORD src1_sel:WORD_1
	v_fma_f16 v89, v89, v43, v90
	v_mul_f16_sdwa v90, v91, v80 dst_sel:DWORD dst_unused:UNUSED_PAD src0_sel:DWORD src1_sel:WORD_1
	v_mul_f16_sdwa v98, v41, v83 dst_sel:DWORD dst_unused:UNUSED_PAD src0_sel:DWORD src1_sel:WORD_1
	v_fma_f16 v91, v91, v80, v92
	v_mul_f16_sdwa v92, v93, v82 dst_sel:DWORD dst_unused:UNUSED_PAD src0_sel:DWORD src1_sel:WORD_1
	v_fma_f16 v93, v93, v82, v94
	;; [unrolled: 2-line block ×3, first 2 shown]
	v_mul_f16_sdwa v96, v97, v83 dst_sel:DWORD dst_unused:UNUSED_PAD src0_sel:DWORD src1_sel:WORD_1
	v_fma_f16 v37, v37, v42, -v99
	v_fma_f16 v40, v40, v80, -v90
	v_fma_f16 v97, v97, v83, v98
	v_fma_f16 v38, v38, v43, -v88
	v_fma_f16 v39, v39, v82, -v92
	;; [unrolled: 1-line block ×4, first 2 shown]
	v_pack_b32_f16 v37, v37, v87
	v_pack_b32_f16 v40, v40, v91
	;; [unrolled: 1-line block ×6, first 2 shown]
	ds_write2_b32 v44, v37, v40 offset0:82 offset1:145
	ds_write2_b32 v45, v85, v36 offset0:63 offset1:126
	;; [unrolled: 1-line block ×4, first 2 shown]
	s_and_saveexec_b64 s[4:5], s[0:1]
	s_cbranch_execz .LBB0_17
; %bb.16:
	v_mov_b32_e32 v37, s3
	v_add_co_u32_e64 v36, s[2:3], s2, v45
	v_addc_co_u32_e64 v37, s[2:3], 0, v37, s[2:3]
	global_load_dword v38, v[36:37], off offset:756
	global_load_dword v39, v[36:37], off offset:1596
	global_load_dword v40, v[36:37], off offset:2436
	v_add_u32_e32 v41, 0x280, v45
	ds_read_b32 v42, v45 offset:2436
	ds_read2_b32 v[36:37], v41 offset0:29 offset1:239
	s_waitcnt lgkmcnt(1)
	v_lshrrev_b32_e32 v43, 16, v42
	s_waitcnt lgkmcnt(0)
	v_lshrrev_b32_e32 v44, 16, v36
	v_lshrrev_b32_e32 v80, 16, v37
	s_waitcnt vmcnt(2)
	v_mul_f16_sdwa v81, v44, v38 dst_sel:DWORD dst_unused:UNUSED_PAD src0_sel:DWORD src1_sel:WORD_1
	v_mul_f16_sdwa v82, v36, v38 dst_sel:DWORD dst_unused:UNUSED_PAD src0_sel:DWORD src1_sel:WORD_1
	s_waitcnt vmcnt(1)
	v_mul_f16_sdwa v83, v80, v39 dst_sel:DWORD dst_unused:UNUSED_PAD src0_sel:DWORD src1_sel:WORD_1
	v_mul_f16_sdwa v84, v37, v39 dst_sel:DWORD dst_unused:UNUSED_PAD src0_sel:DWORD src1_sel:WORD_1
	;; [unrolled: 3-line block ×3, first 2 shown]
	v_fma_f16 v36, v36, v38, -v81
	v_fma_f16 v38, v44, v38, v82
	v_fma_f16 v37, v37, v39, -v83
	v_fma_f16 v39, v80, v39, v84
	;; [unrolled: 2-line block ×3, first 2 shown]
	v_pack_b32_f16 v36, v36, v38
	v_pack_b32_f16 v37, v37, v39
	v_pack_b32_f16 v38, v42, v40
	ds_write2_b32 v41, v36, v37 offset0:29 offset1:239
	ds_write_b32 v45, v38 offset:2436
.LBB0_17:
	s_or_b64 exec, exec, s[4:5]
	s_waitcnt lgkmcnt(0)
	; wave barrier
	s_waitcnt lgkmcnt(0)
	ds_read2_b32 v[41:42], v45 offset1:63
	ds_read2_b32 v[37:38], v45 offset0:126 offset1:210
	ds_read2_b32 v[43:44], v35 offset0:164 offset1:227
	;; [unrolled: 1-line block ×3, first 2 shown]
	ds_read_b32 v82, v45 offset:2184
	s_and_saveexec_b64 s[2:3], s[0:1]
	s_cbranch_execz .LBB0_19
; %bb.18:
	v_add_u32_e32 v31, 0x280, v45
	ds_read2_b32 v[33:34], v31 offset0:29 offset1:239
	ds_read_b32 v31, v45 offset:2436
	s_waitcnt lgkmcnt(1)
	v_lshrrev_b32_e32 v79, 16, v33
	v_lshrrev_b32_e32 v77, 16, v34
	s_waitcnt lgkmcnt(0)
	v_lshrrev_b32_e32 v78, 16, v31
.LBB0_19:
	s_or_b64 exec, exec, s[2:3]
	v_add_f16_e32 v36, v34, v31
	v_add_f16_e32 v35, v34, v33
	v_fma_f16 v33, v36, -0.5, v33
	v_sub_f16_e32 v80, v77, v78
	s_mov_b32 s2, 0xbaee
	s_movk_i32 s3, 0x3aee
	v_fma_f16 v36, v80, s2, v33
	v_fma_f16 v81, v80, s3, v33
	v_add_f16_e32 v33, v77, v79
	s_waitcnt lgkmcnt(3)
	v_pk_add_f16 v83, v41, v38
	v_add_f16_e32 v35, v31, v35
	v_add_f16_e32 v80, v78, v33
	;; [unrolled: 1-line block ×3, first 2 shown]
	v_sub_f16_e32 v31, v34, v31
	s_waitcnt lgkmcnt(2)
	v_pk_add_f16 v34, v38, v43
	v_pk_add_f16 v38, v38, v43 neg_lo:[0,1] neg_hi:[0,1]
	v_fma_f16 v33, v33, -0.5, v79
	v_pk_fma_f16 v34, v34, 0.5, v41 op_sel_hi:[1,0,1] neg_lo:[1,0,0] neg_hi:[1,0,0]
	v_pk_mul_f16 v38, v38, s3 op_sel_hi:[1,0]
	v_fma_f16 v77, v31, s3, v33
	v_fma_f16 v31, v31, s2, v33
	v_pk_add_f16 v41, v34, v38 op_sel:[0,1] op_sel_hi:[1,0] neg_lo:[0,1] neg_hi:[0,1]
	v_pk_add_f16 v34, v34, v38 op_sel:[0,1] op_sel_hi:[1,0]
	s_mov_b32 s2, 0xffff
	v_pk_add_f16 v33, v83, v43
	v_bfi_b32 v38, s2, v41, v34
	s_waitcnt lgkmcnt(0)
	; wave barrier
	s_waitcnt lgkmcnt(0)
	ds_write2_b32 v57, v33, v38 offset1:1
	v_bfi_b32 v33, s2, v34, v41
	v_pk_add_f16 v34, v39, v44
	v_pk_add_f16 v38, v39, v44 neg_lo:[0,1] neg_hi:[0,1]
	v_pk_fma_f16 v34, v34, 0.5, v42 op_sel_hi:[1,0,1] neg_lo:[1,0,0] neg_hi:[1,0,0]
	v_pk_mul_f16 v38, v38, s3 op_sel_hi:[1,0]
	v_pk_add_f16 v84, v42, v39
	v_pk_add_f16 v39, v34, v38 op_sel:[0,1] op_sel_hi:[1,0] neg_lo:[0,1] neg_hi:[0,1]
	v_pk_add_f16 v34, v34, v38 op_sel:[0,1] op_sel_hi:[1,0]
	ds_write_b32 v57, v33 offset:8
	v_pk_add_f16 v33, v84, v44
	v_bfi_b32 v38, s2, v39, v34
	ds_write2_b32 v58, v33, v38 offset1:1
	v_bfi_b32 v33, s2, v34, v39
	v_pk_add_f16 v34, v40, v82
	v_pk_add_f16 v85, v37, v40
	v_pk_fma_f16 v34, v34, 0.5, v37 op_sel_hi:[1,0,1] neg_lo:[1,0,0] neg_hi:[1,0,0]
	v_pk_add_f16 v37, v40, v82 neg_lo:[0,1] neg_hi:[0,1]
	v_pk_mul_f16 v37, v37, s3 op_sel_hi:[1,0]
	v_pk_add_f16 v38, v34, v37 op_sel:[0,1] op_sel_hi:[1,0] neg_lo:[0,1] neg_hi:[0,1]
	v_pk_add_f16 v34, v34, v37 op_sel:[0,1] op_sel_hi:[1,0]
	ds_write_b32 v58, v33 offset:8
	v_pk_add_f16 v33, v85, v82
	v_bfi_b32 v37, s2, v38, v34
	ds_write2_b32 v59, v33, v37 offset1:1
	v_bfi_b32 v33, s2, v34, v38
	ds_write_b32 v59, v33 offset:8
	s_and_saveexec_b64 s[2:3], s[0:1]
	s_cbranch_execz .LBB0_21
; %bb.20:
	s_mov_b32 s4, 0x5040100
	v_lshlrev_b32_e32 v33, 2, v60
	v_perm_b32 v34, v77, v36, s4
	v_perm_b32 v37, v80, v35, s4
	ds_write2_b32 v33, v37, v34 offset1:1
	v_perm_b32 v34, v31, v81, s4
	ds_write_b32 v33, v34 offset:8
.LBB0_21:
	s_or_b64 exec, exec, s[2:3]
	v_add_u32_e32 v39, 0x400, v45
	s_waitcnt lgkmcnt(0)
	; wave barrier
	s_waitcnt lgkmcnt(0)
	ds_read2_b32 v[37:38], v45 offset1:63
	ds_read2_b32 v[33:34], v45 offset0:126 offset1:210
	ds_read2_b32 v[41:42], v39 offset0:164 offset1:227
	;; [unrolled: 1-line block ×3, first 2 shown]
	ds_read_b32 v43, v45 offset:2184
	s_and_saveexec_b64 s[2:3], s[0:1]
	s_cbranch_execz .LBB0_23
; %bb.22:
	v_add_u32_e32 v31, 0x280, v45
	ds_read2_b32 v[35:36], v31 offset0:29 offset1:239
	ds_read_b32 v81, v45 offset:2436
	s_waitcnt lgkmcnt(1)
	v_lshrrev_b32_e32 v80, 16, v35
	v_lshrrev_b32_e32 v77, 16, v36
	s_waitcnt lgkmcnt(0)
	v_lshrrev_b32_e32 v31, 16, v81
.LBB0_23:
	s_or_b64 exec, exec, s[2:3]
	s_waitcnt lgkmcnt(3)
	v_lshrrev_b32_e32 v57, 16, v34
	v_mul_f16_sdwa v84, v23, v57 dst_sel:DWORD dst_unused:UNUSED_PAD src0_sel:WORD_1 src1_sel:DWORD
	s_waitcnt lgkmcnt(2)
	v_lshrrev_b32_e32 v58, 16, v41
	v_fma_f16 v84, v23, v34, v84
	v_mul_f16_sdwa v34, v23, v34 dst_sel:DWORD dst_unused:UNUSED_PAD src0_sel:WORD_1 src1_sel:DWORD
	v_fma_f16 v34, v23, v57, -v34
	v_mul_f16_sdwa v23, v24, v58 dst_sel:DWORD dst_unused:UNUSED_PAD src0_sel:WORD_1 src1_sel:DWORD
	s_waitcnt lgkmcnt(1)
	v_lshrrev_b32_e32 v60, 16, v39
	v_fma_f16 v57, v24, v41, v23
	v_mul_f16_sdwa v23, v24, v41 dst_sel:DWORD dst_unused:UNUSED_PAD src0_sel:WORD_1 src1_sel:DWORD
	v_fma_f16 v41, v24, v58, -v23
	v_mul_f16_sdwa v23, v19, v60 dst_sel:DWORD dst_unused:UNUSED_PAD src0_sel:WORD_1 src1_sel:DWORD
	v_lshrrev_b32_e32 v78, 16, v42
	v_fma_f16 v58, v19, v39, v23
	v_mul_f16_sdwa v23, v19, v39 dst_sel:DWORD dst_unused:UNUSED_PAD src0_sel:WORD_1 src1_sel:DWORD
	v_fma_f16 v39, v19, v60, -v23
	v_mul_f16_sdwa v19, v20, v78 dst_sel:DWORD dst_unused:UNUSED_PAD src0_sel:WORD_1 src1_sel:DWORD
	;; [unrolled: 5-line block ×3, first 2 shown]
	s_waitcnt lgkmcnt(0)
	v_lshrrev_b32_e32 v83, 16, v43
	v_fma_f16 v42, v25, v40, v19
	v_mul_f16_sdwa v19, v25, v40 dst_sel:DWORD dst_unused:UNUSED_PAD src0_sel:WORD_1 src1_sel:DWORD
	v_fma_f16 v40, v25, v82, -v19
	v_mul_f16_sdwa v19, v26, v83 dst_sel:DWORD dst_unused:UNUSED_PAD src0_sel:WORD_1 src1_sel:DWORD
	v_fma_f16 v78, v26, v43, v19
	v_mul_f16_sdwa v19, v26, v43 dst_sel:DWORD dst_unused:UNUSED_PAD src0_sel:WORD_1 src1_sel:DWORD
	v_fma_f16 v26, v26, v83, -v19
	v_mul_f16_sdwa v19, v21, v77 dst_sel:DWORD dst_unused:UNUSED_PAD src0_sel:WORD_1 src1_sel:DWORD
	v_mul_f16_sdwa v23, v21, v36 dst_sel:DWORD dst_unused:UNUSED_PAD src0_sel:WORD_1 src1_sel:DWORD
	v_fma_f16 v19, v21, v36, v19
	v_fma_f16 v24, v21, v77, -v23
	v_mul_f16_sdwa v21, v22, v31 dst_sel:DWORD dst_unused:UNUSED_PAD src0_sel:WORD_1 src1_sel:DWORD
	v_fma_f16 v23, v22, v81, v21
	v_mul_f16_sdwa v21, v22, v81 dst_sel:DWORD dst_unused:UNUSED_PAD src0_sel:WORD_1 src1_sel:DWORD
	v_fma_f16 v25, v22, v31, -v21
	v_add_f16_e32 v21, v37, v84
	v_add_f16_e32 v36, v21, v57
	;; [unrolled: 1-line block ×3, first 2 shown]
	v_lshrrev_b32_e32 v44, 16, v37
	v_fma_f16 v21, v21, -0.5, v37
	v_sub_f16_e32 v22, v34, v41
	s_mov_b32 s2, 0xbaee
	s_movk_i32 s3, 0x3aee
	v_fma_f16 v37, v22, s2, v21
	v_fma_f16 v43, v22, s3, v21
	v_add_f16_e32 v21, v44, v34
	v_add_f16_e32 v77, v21, v41
	;; [unrolled: 1-line block ×3, first 2 shown]
	v_fma_f16 v21, v21, -0.5, v44
	v_sub_f16_e32 v22, v84, v57
	v_fma_f16 v34, v22, s3, v21
	v_fma_f16 v41, v22, s2, v21
	v_add_f16_e32 v21, v38, v58
	v_add_f16_e32 v44, v21, v60
	;; [unrolled: 1-line block ×3, first 2 shown]
	v_lshrrev_b32_e32 v59, 16, v38
	v_fma_f16 v21, v21, -0.5, v38
	v_sub_f16_e32 v22, v39, v20
	v_fma_f16 v38, v22, s2, v21
	v_fma_f16 v57, v22, s3, v21
	v_add_f16_e32 v21, v59, v39
	v_add_f16_e32 v81, v21, v20
	;; [unrolled: 1-line block ×3, first 2 shown]
	v_fma_f16 v20, v20, -0.5, v59
	v_sub_f16_e32 v21, v58, v60
	v_fma_f16 v39, v21, s3, v20
	v_fma_f16 v58, v21, s2, v20
	v_add_f16_e32 v20, v33, v42
	v_add_f16_e32 v59, v20, v78
	;; [unrolled: 1-line block ×3, first 2 shown]
	v_lshrrev_b32_e32 v79, 16, v33
	v_fma_f16 v20, v20, -0.5, v33
	v_sub_f16_e32 v21, v40, v26
	v_fma_f16 v33, v21, s2, v20
	v_fma_f16 v60, v21, s3, v20
	v_add_f16_e32 v20, v79, v40
	v_add_f16_e32 v82, v20, v26
	;; [unrolled: 1-line block ×3, first 2 shown]
	v_fma_f16 v20, v20, -0.5, v79
	v_sub_f16_e32 v21, v42, v78
	v_pack_b32_f16 v36, v36, v77
	v_pack_b32_f16 v34, v37, v34
	v_fma_f16 v26, v21, s3, v20
	v_fma_f16 v40, v21, s2, v20
	v_add_f16_e32 v20, v19, v23
	s_waitcnt lgkmcnt(0)
	; wave barrier
	ds_write2_b32 v61, v36, v34 offset1:3
	v_pack_b32_f16 v34, v43, v41
	v_fma_f16 v21, v20, -0.5, v35
	v_sub_f16_e32 v22, v24, v25
	ds_write_b32 v61, v34 offset:24
	v_pack_b32_f16 v34, v44, v81
	v_pack_b32_f16 v36, v38, v39
	v_fma_f16 v20, v22, s2, v21
	v_fma_f16 v31, v22, s3, v21
	v_add_f16_e32 v21, v24, v25
	ds_write2_b32 v63, v34, v36 offset1:3
	v_pack_b32_f16 v34, v57, v58
	v_fma_f16 v22, v21, -0.5, v80
	v_sub_f16_e32 v42, v19, v23
	ds_write_b32 v63, v34 offset:24
	v_pack_b32_f16 v34, v59, v82
	v_pack_b32_f16 v26, v33, v26
	v_fma_f16 v21, v42, s3, v22
	v_fma_f16 v22, v42, s2, v22
	ds_write2_b32 v65, v34, v26 offset1:3
	v_pack_b32_f16 v26, v60, v40
	ds_write_b32 v65, v26 offset:24
	s_and_saveexec_b64 s[2:3], s[0:1]
	s_cbranch_execz .LBB0_25
; %bb.24:
	v_add_f16_e32 v24, v24, v80
	v_add_f16_e32 v19, v19, v35
	;; [unrolled: 1-line block ×4, first 2 shown]
	s_mov_b32 s4, 0x5040100
	v_add_lshl_u32 v23, v64, v56, 2
	v_pack_b32_f16 v19, v19, v24
	v_perm_b32 v24, v21, v20, s4
	ds_write2_b32 v23, v19, v24 offset1:3
	v_perm_b32 v19, v22, v31, s4
	ds_write_b32 v23, v19 offset:24
.LBB0_25:
	s_or_b64 exec, exec, s[2:3]
	s_waitcnt lgkmcnt(0)
	; wave barrier
	s_waitcnt lgkmcnt(0)
	ds_read2_b32 v[23:24], v45 offset1:63
	ds_read2_b32 v[34:35], v45 offset0:126 offset1:189
	v_add_u32_e32 v26, 0x200, v45
	ds_read2_b32 v[36:37], v26 offset0:124 offset1:187
	v_add_u32_e32 v42, 0x400, v45
	;; [unrolled: 2-line block ×3, first 2 shown]
	ds_read2_b32 v[40:41], v33 offset0:120 offset1:183
	s_waitcnt lgkmcnt(3)
	v_lshrrev_b32_e32 v25, 16, v34
	v_mul_f16_sdwa v63, v0, v25 dst_sel:DWORD dst_unused:UNUSED_PAD src0_sel:WORD_1 src1_sel:DWORD
	s_waitcnt lgkmcnt(2)
	v_lshrrev_b32_e32 v43, 16, v36
	v_fma_f16 v63, v0, v34, v63
	v_mul_f16_sdwa v34, v0, v34 dst_sel:DWORD dst_unused:UNUSED_PAD src0_sel:WORD_1 src1_sel:DWORD
	s_waitcnt lgkmcnt(1)
	v_lshrrev_b32_e32 v44, 16, v38
	v_fma_f16 v0, v0, v25, -v34
	v_mul_f16_sdwa v25, v1, v43 dst_sel:DWORD dst_unused:UNUSED_PAD src0_sel:WORD_1 src1_sel:DWORD
	v_mul_f16_sdwa v34, v1, v36 dst_sel:DWORD dst_unused:UNUSED_PAD src0_sel:WORD_1 src1_sel:DWORD
	s_waitcnt lgkmcnt(0)
	v_lshrrev_b32_e32 v56, 16, v40
	v_fma_f16 v25, v1, v36, v25
	v_fma_f16 v1, v1, v43, -v34
	v_mul_f16_sdwa v34, v2, v44 dst_sel:DWORD dst_unused:UNUSED_PAD src0_sel:WORD_1 src1_sel:DWORD
	v_mul_f16_sdwa v36, v2, v38 dst_sel:DWORD dst_unused:UNUSED_PAD src0_sel:WORD_1 src1_sel:DWORD
	v_lshrrev_b32_e32 v58, 16, v35
	v_fma_f16 v34, v2, v38, v34
	v_fma_f16 v2, v2, v44, -v36
	v_mul_f16_sdwa v36, v3, v56 dst_sel:DWORD dst_unused:UNUSED_PAD src0_sel:WORD_1 src1_sel:DWORD
	v_mul_f16_sdwa v38, v3, v40 dst_sel:DWORD dst_unused:UNUSED_PAD src0_sel:WORD_1 src1_sel:DWORD
	v_fma_f16 v36, v3, v40, v36
	v_fma_f16 v3, v3, v56, -v38
	v_mul_f16_sdwa v38, v4, v58 dst_sel:DWORD dst_unused:UNUSED_PAD src0_sel:WORD_1 src1_sel:DWORD
	v_lshrrev_b32_e32 v59, 16, v37
	v_fma_f16 v38, v4, v35, v38
	v_mul_f16_sdwa v35, v4, v35 dst_sel:DWORD dst_unused:UNUSED_PAD src0_sel:WORD_1 src1_sel:DWORD
	v_fma_f16 v4, v4, v58, -v35
	v_mul_f16_sdwa v35, v5, v59 dst_sel:DWORD dst_unused:UNUSED_PAD src0_sel:WORD_1 src1_sel:DWORD
	v_lshrrev_b32_e32 v60, 16, v39
	v_fma_f16 v35, v5, v37, v35
	v_mul_f16_sdwa v37, v5, v37 dst_sel:DWORD dst_unused:UNUSED_PAD src0_sel:WORD_1 src1_sel:DWORD
	;; [unrolled: 5-line block ×3, first 2 shown]
	v_fma_f16 v6, v6, v60, -v39
	v_mul_f16_sdwa v39, v7, v61 dst_sel:DWORD dst_unused:UNUSED_PAD src0_sel:WORD_1 src1_sel:DWORD
	v_fma_f16 v39, v7, v41, v39
	v_mul_f16_sdwa v40, v7, v41 dst_sel:DWORD dst_unused:UNUSED_PAD src0_sel:WORD_1 src1_sel:DWORD
	v_add_f16_e32 v41, v25, v34
	v_fma_f16 v41, v41, -0.5, v23
	v_sub_f16_e32 v43, v0, v3
	s_mov_b32 s2, 0xbb9c
	s_movk_i32 s5, 0x3b9c
	v_fma_f16 v44, v43, s2, v41
	v_sub_f16_e32 v56, v1, v2
	s_mov_b32 s3, 0xb8b4
	v_sub_f16_e32 v58, v63, v25
	v_sub_f16_e32 v59, v36, v34
	v_fma_f16 v41, v43, s5, v41
	s_movk_i32 s12, 0x38b4
	v_fma_f16 v44, v56, s3, v44
	v_add_f16_e32 v58, v58, v59
	s_movk_i32 s4, 0x34f2
	v_fma_f16 v41, v56, s12, v41
	v_fma_f16 v44, v58, s4, v44
	;; [unrolled: 1-line block ×3, first 2 shown]
	v_add_f16_e32 v58, v63, v36
	v_lshrrev_b32_e32 v19, 16, v23
	v_fma_f16 v7, v7, v61, -v40
	v_add_f16_e32 v40, v23, v63
	v_fma_f16 v23, v58, -0.5, v23
	v_fma_f16 v58, v56, s5, v23
	v_sub_f16_e32 v59, v25, v63
	v_sub_f16_e32 v60, v34, v36
	v_fma_f16 v23, v56, s2, v23
	v_add_f16_e32 v59, v59, v60
	v_fma_f16 v23, v43, s12, v23
	v_fma_f16 v58, v43, s3, v58
	v_fma_f16 v43, v59, s4, v23
	v_add_f16_e32 v23, v19, v0
	v_add_f16_e32 v23, v23, v1
	;; [unrolled: 1-line block ×8, first 2 shown]
	v_fma_f16 v23, v23, -0.5, v19
	v_sub_f16_e32 v36, v63, v36
	v_fma_f16 v58, v59, s4, v58
	v_fma_f16 v59, v36, s5, v23
	v_sub_f16_e32 v25, v25, v34
	v_fma_f16 v34, v25, s12, v59
	v_sub_f16_e32 v59, v0, v1
	v_sub_f16_e32 v60, v3, v2
	v_fma_f16 v23, v36, s2, v23
	v_add_f16_e32 v59, v59, v60
	v_fma_f16 v23, v25, s3, v23
	v_fma_f16 v34, v59, s4, v34
	;; [unrolled: 1-line block ×3, first 2 shown]
	v_add_f16_e32 v23, v0, v3
	v_fma_f16 v19, v23, -0.5, v19
	v_sub_f16_e32 v0, v1, v0
	v_sub_f16_e32 v1, v2, v3
	v_fma_f16 v23, v25, s2, v19
	v_add_f16_e32 v0, v0, v1
	v_fma_f16 v1, v25, s5, v19
	v_fma_f16 v23, v36, s12, v23
	v_fma_f16 v1, v36, s3, v1
	v_fma_f16 v2, v0, s4, v23
	v_fma_f16 v3, v0, s4, v1
	v_add_f16_e32 v0, v24, v38
	v_add_f16_e32 v0, v0, v35
	;; [unrolled: 1-line block ×5, first 2 shown]
	v_fma_f16 v0, v0, -0.5, v24
	v_sub_f16_e32 v1, v4, v7
	v_fma_f16 v19, v1, s2, v0
	v_sub_f16_e32 v23, v5, v6
	v_sub_f16_e32 v25, v38, v35
	;; [unrolled: 1-line block ×3, first 2 shown]
	v_fma_f16 v0, v1, s5, v0
	v_fma_f16 v19, v23, s3, v19
	v_add_f16_e32 v25, v25, v60
	v_fma_f16 v0, v23, s12, v0
	v_fma_f16 v60, v25, s4, v19
	;; [unrolled: 1-line block ×3, first 2 shown]
	v_add_f16_e32 v0, v38, v39
	v_lshrrev_b32_e32 v57, 16, v24
	v_fma_f16 v24, v0, -0.5, v24
	v_fma_f16 v0, v23, s5, v24
	v_fma_f16 v23, v23, s2, v24
	;; [unrolled: 1-line block ×4, first 2 shown]
	v_add_f16_e32 v23, v57, v4
	v_add_f16_e32 v23, v23, v5
	v_sub_f16_e32 v25, v35, v38
	v_sub_f16_e32 v61, v37, v39
	v_add_f16_e32 v23, v23, v6
	v_add_f16_e32 v25, v25, v61
	;; [unrolled: 1-line block ×4, first 2 shown]
	v_fma_f16 v0, v25, s4, v0
	v_fma_f16 v1, v25, s4, v1
	v_fma_f16 v23, v23, -0.5, v57
	v_sub_f16_e32 v25, v38, v39
	v_fma_f16 v24, v25, s5, v23
	v_sub_f16_e32 v35, v35, v37
	v_sub_f16_e32 v37, v4, v5
	;; [unrolled: 1-line block ×3, first 2 shown]
	v_fma_f16 v23, v25, s2, v23
	v_fma_f16 v24, v35, s12, v24
	v_add_f16_e32 v37, v37, v38
	v_fma_f16 v23, v35, s3, v23
	v_fma_f16 v38, v37, s4, v24
	v_fma_f16 v24, v37, s4, v23
	v_add_f16_e32 v23, v4, v7
	v_fma_f16 v37, v23, -0.5, v57
	v_sub_f16_e32 v4, v5, v4
	v_sub_f16_e32 v5, v6, v7
	v_fma_f16 v23, v35, s2, v37
	v_add_f16_e32 v4, v4, v5
	v_fma_f16 v5, v35, s5, v37
	v_pack_b32_f16 v2, v58, v2
	v_pack_b32_f16 v3, v43, v3
	v_fma_f16 v23, v25, s12, v23
	v_fma_f16 v5, v25, s3, v5
	s_waitcnt lgkmcnt(0)
	; wave barrier
	ds_write2_b32 v66, v2, v3 offset0:18 offset1:27
	v_pack_b32_f16 v2, v41, v59
	v_fma_f16 v23, v4, s4, v23
	v_fma_f16 v25, v4, s4, v5
	v_pack_b32_f16 v4, v40, v56
	v_pack_b32_f16 v5, v44, v34
	ds_write_b32 v66, v2 offset:144
	v_pack_b32_f16 v2, v36, v61
	v_pack_b32_f16 v3, v60, v38
	ds_write2_b32 v66, v4, v5 offset1:9
	ds_write2_b32 v67, v2, v3 offset1:9
	v_pack_b32_f16 v2, v0, v23
	v_pack_b32_f16 v3, v1, v25
	ds_write2_b32 v67, v2, v3 offset0:18 offset1:27
	v_pack_b32_f16 v2, v19, v24
	ds_write_b32 v67, v2 offset:144
	s_waitcnt lgkmcnt(0)
	; wave barrier
	s_waitcnt lgkmcnt(0)
	ds_read2_b32 v[2:3], v45 offset1:90
	ds_read2_b32 v[6:7], v26 offset0:52 offset1:142
	ds_read2_b32 v[4:5], v42 offset0:104 offset1:194
	ds_read_b32 v34, v45 offset:2160
	s_and_saveexec_b64 s[2:3], vcc
	s_cbranch_execz .LBB0_27
; %bb.26:
	ds_read2_b32 v[0:1], v45 offset0:63 offset1:153
	ds_read2_b32 v[19:20], v26 offset0:115 offset1:205
	;; [unrolled: 1-line block ×3, first 2 shown]
	ds_read_b32 v74, v45 offset:2412
	s_waitcnt lgkmcnt(3)
	v_lshrrev_b32_e32 v23, 16, v0
	v_lshrrev_b32_e32 v25, 16, v1
	s_waitcnt lgkmcnt(2)
	v_lshrrev_b32_e32 v24, 16, v19
	v_lshrrev_b32_e32 v21, 16, v20
	;; [unrolled: 3-line block ×3, first 2 shown]
	s_waitcnt lgkmcnt(0)
	v_lshrrev_b32_e32 v75, 16, v74
.LBB0_27:
	s_or_b64 exec, exec, s[2:3]
	s_waitcnt lgkmcnt(3)
	v_lshrrev_b32_e32 v26, 16, v3
	v_mul_f16_sdwa v39, v12, v26 dst_sel:DWORD dst_unused:UNUSED_PAD src0_sel:WORD_1 src1_sel:DWORD
	s_waitcnt lgkmcnt(2)
	v_lshrrev_b32_e32 v33, 16, v6
	v_fma_f16 v39, v12, v3, v39
	v_mul_f16_sdwa v3, v12, v3 dst_sel:DWORD dst_unused:UNUSED_PAD src0_sel:WORD_1 src1_sel:DWORD
	v_fma_f16 v3, v12, v26, -v3
	v_mul_f16_sdwa v12, v13, v33 dst_sel:DWORD dst_unused:UNUSED_PAD src0_sel:WORD_1 src1_sel:DWORD
	v_lshrrev_b32_e32 v35, 16, v7
	v_fma_f16 v12, v13, v6, v12
	v_mul_f16_sdwa v6, v13, v6 dst_sel:DWORD dst_unused:UNUSED_PAD src0_sel:WORD_1 src1_sel:DWORD
	v_fma_f16 v6, v13, v33, -v6
	v_mul_f16_sdwa v13, v14, v35 dst_sel:DWORD dst_unused:UNUSED_PAD src0_sel:WORD_1 src1_sel:DWORD
	s_waitcnt lgkmcnt(1)
	v_lshrrev_b32_e32 v36, 16, v4
	v_fma_f16 v13, v14, v7, v13
	v_mul_f16_sdwa v7, v14, v7 dst_sel:DWORD dst_unused:UNUSED_PAD src0_sel:WORD_1 src1_sel:DWORD
	v_fma_f16 v7, v14, v35, -v7
	v_mul_f16_sdwa v14, v15, v36 dst_sel:DWORD dst_unused:UNUSED_PAD src0_sel:WORD_1 src1_sel:DWORD
	v_lshrrev_b32_e32 v37, 16, v5
	v_fma_f16 v14, v15, v4, v14
	v_mul_f16_sdwa v4, v15, v4 dst_sel:DWORD dst_unused:UNUSED_PAD src0_sel:WORD_1 src1_sel:DWORD
	v_fma_f16 v4, v15, v36, -v4
	v_mul_f16_sdwa v15, v29, v37 dst_sel:DWORD dst_unused:UNUSED_PAD src0_sel:WORD_1 src1_sel:DWORD
	s_waitcnt lgkmcnt(0)
	v_lshrrev_b32_e32 v38, 16, v34
	v_fma_f16 v15, v29, v5, v15
	v_mul_f16_sdwa v5, v29, v5 dst_sel:DWORD dst_unused:UNUSED_PAD src0_sel:WORD_1 src1_sel:DWORD
	v_fma_f16 v5, v29, v37, -v5
	v_mul_f16_sdwa v26, v30, v38 dst_sel:DWORD dst_unused:UNUSED_PAD src0_sel:WORD_1 src1_sel:DWORD
	v_mul_f16_sdwa v29, v30, v34 dst_sel:DWORD dst_unused:UNUSED_PAD src0_sel:WORD_1 src1_sel:DWORD
	v_fma_f16 v26, v30, v34, v26
	v_fma_f16 v29, v30, v38, -v29
	v_add_f16_e32 v30, v39, v26
	v_add_f16_e32 v33, v3, v29
	v_sub_f16_e32 v3, v3, v29
	v_add_f16_e32 v29, v12, v15
	v_add_f16_e32 v34, v6, v5
	v_sub_f16_e32 v12, v12, v15
	v_sub_f16_e32 v5, v6, v5
	v_add_f16_e32 v6, v13, v14
	v_add_f16_e32 v15, v7, v4
	v_sub_f16_e32 v13, v14, v13
	;; [unrolled: 4-line block ×3, first 2 shown]
	v_sub_f16_e32 v35, v29, v30
	v_sub_f16_e32 v36, v34, v33
	;; [unrolled: 1-line block ×6, first 2 shown]
	v_add_f16_e32 v37, v13, v12
	v_add_f16_e32 v38, v4, v5
	v_sub_f16_e32 v39, v13, v12
	v_sub_f16_e32 v40, v4, v5
	v_add_f16_e32 v6, v6, v7
	v_add_f16_e32 v7, v15, v14
	v_sub_f16_e32 v13, v26, v13
	v_sub_f16_e32 v4, v3, v4
	;; [unrolled: 1-line block ×4, first 2 shown]
	v_add_f16_e32 v14, v37, v26
	v_add_f16_e32 v3, v38, v3
	v_add_f16_e32 v15, v2, v6
	v_add_f16_sdwa v2, v2, v7 dst_sel:DWORD dst_unused:UNUSED_PAD src0_sel:WORD_1 src1_sel:DWORD
	v_mul_f16_e32 v26, 0x3a52, v30
	v_mul_f16_e32 v30, 0x3a52, v33
	s_movk_i32 s15, 0x2b26
	v_mul_f16_e32 v33, 0x2b26, v29
	v_mul_f16_e32 v37, 0x2b26, v34
	;; [unrolled: 1-line block ×4, first 2 shown]
	s_mov_b32 s16, 0xbcab
	s_movk_i32 s5, 0x39e0
	s_mov_b32 s12, 0xb9e0
	s_mov_b32 s17, 0xb574
	;; [unrolled: 1-line block ×3, first 2 shown]
	v_mul_f16_e32 v40, 0xbb00, v12
	v_mul_f16_e32 v41, 0xbb00, v5
	v_fma_f16 v6, v6, s16, v15
	v_fma_f16 v7, v7, s16, v2
	;; [unrolled: 1-line block ×4, first 2 shown]
	v_fma_f16 v33, v35, s5, -v33
	v_fma_f16 v37, v36, s5, -v37
	v_fma_f16 v26, v35, s12, -v26
	v_fma_f16 v30, v36, s12, -v30
	v_fma_f16 v35, v13, s17, v38
	v_fma_f16 v36, v4, s17, v39
	s_movk_i32 s13, 0x3574
	s_mov_b32 s14, 0xb70e
	v_fma_f16 v12, v12, s4, -v38
	v_fma_f16 v5, v5, s4, -v39
	;; [unrolled: 1-line block ×4, first 2 shown]
	v_add_f16_e32 v29, v29, v6
	v_add_f16_e32 v34, v34, v7
	;; [unrolled: 1-line block ×6, first 2 shown]
	v_fma_f16 v26, v14, s14, v35
	v_fma_f16 v30, v3, s14, v36
	;; [unrolled: 1-line block ×6, first 2 shown]
	v_add_f16_e32 v4, v30, v29
	v_sub_f16_e32 v14, v34, v26
	v_add_f16_e32 v35, v3, v6
	v_sub_f16_e32 v36, v7, v13
	v_sub_f16_e32 v38, v33, v5
	v_add_f16_e32 v39, v12, v37
	v_pack_b32_f16 v2, v15, v2
	v_pack_b32_f16 v4, v4, v14
	v_add_f16_e32 v5, v5, v33
	v_sub_f16_e32 v12, v37, v12
	v_sub_f16_e32 v3, v6, v3
	v_add_f16_e32 v6, v13, v7
	s_waitcnt lgkmcnt(0)
	; wave barrier
	ds_write2_b32 v76, v2, v4 offset1:45
	v_pack_b32_f16 v2, v35, v36
	v_pack_b32_f16 v4, v38, v39
	v_sub_f16_e32 v7, v29, v30
	v_add_f16_e32 v13, v26, v34
	ds_write2_b32 v76, v2, v4 offset0:90 offset1:135
	v_pack_b32_f16 v2, v5, v12
	v_pack_b32_f16 v3, v3, v6
	ds_write2_b32 v76, v2, v3 offset0:180 offset1:225
	v_pack_b32_f16 v2, v7, v13
	ds_write_b32 v76, v2 offset:1080
	s_and_saveexec_b64 s[2:3], vcc
	s_cbranch_execz .LBB0_29
; %bb.28:
	v_mul_f16_sdwa v6, v10, v21 dst_sel:DWORD dst_unused:UNUSED_PAD src0_sel:WORD_1 src1_sel:DWORD
	v_fma_f16 v6, v10, v20, v6
	v_mul_f16_sdwa v20, v10, v20 dst_sel:DWORD dst_unused:UNUSED_PAD src0_sel:WORD_1 src1_sel:DWORD
	v_mul_f16_sdwa v2, v8, v25 dst_sel:DWORD dst_unused:UNUSED_PAD src0_sel:WORD_1 src1_sel:DWORD
	;; [unrolled: 1-line block ×4, first 2 shown]
	v_fma_f16 v10, v10, v21, -v20
	v_mul_f16_sdwa v20, v11, v31 dst_sel:DWORD dst_unused:UNUSED_PAD src0_sel:WORD_1 src1_sel:DWORD
	v_fma_f16 v2, v8, v1, v2
	v_mul_f16_sdwa v3, v28, v75 dst_sel:DWORD dst_unused:UNUSED_PAD src0_sel:WORD_1 src1_sel:DWORD
	v_fma_f16 v5, v11, v31, v5
	v_fma_f16 v13, v9, v19, v13
	v_mul_f16_sdwa v14, v27, v73 dst_sel:DWORD dst_unused:UNUSED_PAD src0_sel:WORD_1 src1_sel:DWORD
	v_mul_f16_sdwa v30, v28, v74 dst_sel:DWORD dst_unused:UNUSED_PAD src0_sel:WORD_1 src1_sel:DWORD
	;; [unrolled: 1-line block ×3, first 2 shown]
	v_fma_f16 v11, v11, v22, -v20
	v_mul_f16_sdwa v22, v27, v32 dst_sel:DWORD dst_unused:UNUSED_PAD src0_sel:WORD_1 src1_sel:DWORD
	v_mul_f16_sdwa v19, v9, v19 dst_sel:DWORD dst_unused:UNUSED_PAD src0_sel:WORD_1 src1_sel:DWORD
	v_fma_f16 v3, v28, v74, v3
	v_fma_f16 v14, v27, v32, v14
	v_fma_f16 v28, v28, v75, -v30
	v_fma_f16 v1, v8, v25, -v1
	;; [unrolled: 1-line block ×4, first 2 shown]
	v_sub_f16_e32 v4, v2, v3
	v_sub_f16_e32 v7, v5, v6
	;; [unrolled: 1-line block ×3, first 2 shown]
	v_add_f16_e32 v8, v28, v1
	v_add_f16_e32 v20, v10, v11
	;; [unrolled: 1-line block ×6, first 2 shown]
	v_sub_f16_e32 v1, v1, v28
	v_sub_f16_e32 v10, v11, v10
	;; [unrolled: 1-line block ×5, first 2 shown]
	v_add_f16_e32 v7, v7, v15
	v_add_f16_e32 v27, v19, v8
	;; [unrolled: 1-line block ×3, first 2 shown]
	v_sub_f16_e32 v11, v1, v10
	v_sub_f16_e32 v22, v10, v9
	v_add_f16_e32 v10, v10, v9
	v_add_f16_e32 v7, v7, v4
	v_sub_f16_e32 v21, v8, v20
	v_sub_f16_e32 v24, v20, v19
	v_add_f16_e32 v20, v20, v27
	v_sub_f16_e32 v5, v2, v3
	v_sub_f16_e32 v13, v3, v6
	v_add_f16_e32 v3, v3, v30
	v_add_f16_e32 v10, v10, v1
	v_sub_f16_e32 v4, v15, v4
	v_sub_f16_e32 v1, v9, v1
	v_mul_f16_e32 v26, 0x3846, v26
	v_mul_f16_e32 v21, 0x3a52, v21
	;; [unrolled: 1-line block ×3, first 2 shown]
	v_add_f16_e32 v23, v23, v20
	v_mul_f16_e32 v5, 0x3a52, v5
	v_add_f16_e32 v0, v0, v3
	v_mul_f16_e32 v22, 0x3846, v22
	v_mul_f16_e32 v15, 0xbb00, v4
	v_sub_f16_e32 v8, v19, v8
	v_sub_f16_e32 v2, v6, v2
	v_mul_f16_e32 v6, 0xbb00, v1
	v_fma_f16 v29, v12, s17, v26
	v_fma_f16 v24, v24, s15, v21
	;; [unrolled: 1-line block ×3, first 2 shown]
	v_mul_f16_e32 v14, 0x2b26, v13
	v_fma_f16 v13, v13, s15, v5
	v_fma_f16 v3, v3, s16, v0
	;; [unrolled: 1-line block ×3, first 2 shown]
	v_fma_f16 v12, v12, s13, -v15
	v_fma_f16 v15, v8, s12, -v21
	;; [unrolled: 1-line block ×7, first 2 shown]
	v_fma_f16 v29, v7, s14, v29
	v_add_f16_e32 v24, v24, v20
	v_add_f16_e32 v13, v13, v3
	v_fma_f16 v28, v10, s14, v28
	v_add_f16_e32 v5, v5, v3
	v_fma_f16 v6, v10, s14, v6
	;; [unrolled: 2-line block ×3, first 2 shown]
	v_fma_f16 v1, v10, s14, v1
	v_fma_f16 v2, v2, s5, -v14
	v_mov_b32_e32 v10, 2
	v_fma_f16 v12, v7, s14, v12
	v_add_f16_e32 v15, v15, v20
	v_sub_f16_e32 v9, v5, v6
	v_sub_f16_e32 v7, v8, v4
	v_add_f16_e32 v2, v2, v3
	v_add_f16_e32 v4, v4, v8
	;; [unrolled: 1-line block ×3, first 2 shown]
	v_sub_f16_e32 v6, v24, v29
	v_add_f16_e32 v8, v28, v13
	v_lshlrev_b32_sdwa v10, v10, v62 dst_sel:DWORD dst_unused:UNUSED_PAD src0_sel:DWORD src1_sel:BYTE_0
	v_add_f16_e32 v3, v1, v2
	v_sub_f16_e32 v1, v2, v1
	v_sub_f16_e32 v2, v15, v12
	v_pack_b32_f16 v0, v0, v23
	v_pack_b32_f16 v6, v8, v6
	v_add_u32_e32 v8, 0x400, v10
	v_add_f16_e32 v19, v12, v15
	ds_write2_b32 v8, v0, v6 offset0:59 offset1:104
	v_pack_b32_f16 v0, v5, v2
	v_pack_b32_f16 v1, v1, v4
	v_add_f16_e32 v27, v29, v24
	v_sub_f16_e32 v30, v13, v28
	ds_write2_b32 v8, v0, v1 offset0:149 offset1:194
	v_pack_b32_f16 v0, v3, v7
	v_pack_b32_f16 v1, v9, v19
	v_add_u32_e32 v2, 0x600, v10
	ds_write2_b32 v2, v0, v1 offset0:111 offset1:156
	v_pack_b32_f16 v0, v30, v27
	ds_write_b32 v10, v0 offset:2340
.LBB0_29:
	s_or_b64 exec, exec, s[2:3]
	v_add_u32_e32 v2, 0x200, v45
	s_waitcnt lgkmcnt(0)
	; wave barrier
	s_waitcnt lgkmcnt(0)
	ds_read2_b32 v[4:5], v2 offset0:124 offset1:187
	v_add_u32_e32 v3, 0x400, v45
	ds_read2_b32 v[0:1], v45 offset1:63
	ds_read2_b32 v[6:7], v3 offset0:122 offset1:185
	ds_read2_b32 v[8:9], v45 offset0:126 offset1:189
	v_add_u32_e32 v14, 0x600, v45
	s_waitcnt lgkmcnt(3)
	v_lshrrev_b32_e32 v12, 16, v5
	ds_read2_b32 v[10:11], v14 offset0:120 offset1:183
	v_mul_f16_sdwa v25, v68, v12 dst_sel:DWORD dst_unused:UNUSED_PAD src0_sel:WORD_1 src1_sel:DWORD
	s_waitcnt lgkmcnt(2)
	v_lshrrev_b32_e32 v15, 16, v6
	v_fma_f16 v25, v68, v5, v25
	v_mul_f16_sdwa v5, v68, v5 dst_sel:DWORD dst_unused:UNUSED_PAD src0_sel:WORD_1 src1_sel:DWORD
	v_fma_f16 v5, v68, v12, -v5
	v_mul_f16_sdwa v12, v69, v15 dst_sel:DWORD dst_unused:UNUSED_PAD src0_sel:WORD_1 src1_sel:DWORD
	v_lshrrev_b32_e32 v20, 16, v7
	v_fma_f16 v12, v69, v6, v12
	v_mul_f16_sdwa v6, v69, v6 dst_sel:DWORD dst_unused:UNUSED_PAD src0_sel:WORD_1 src1_sel:DWORD
	v_fma_f16 v6, v69, v15, -v6
	v_mul_f16_sdwa v15, v70, v20 dst_sel:DWORD dst_unused:UNUSED_PAD src0_sel:WORD_1 src1_sel:DWORD
	s_waitcnt lgkmcnt(0)
	v_lshrrev_b32_e32 v22, 16, v10
	v_fma_f16 v15, v70, v7, v15
	v_mul_f16_sdwa v7, v70, v7 dst_sel:DWORD dst_unused:UNUSED_PAD src0_sel:WORD_1 src1_sel:DWORD
	v_fma_f16 v7, v70, v20, -v7
	v_mul_f16_sdwa v20, v71, v22 dst_sel:DWORD dst_unused:UNUSED_PAD src0_sel:WORD_1 src1_sel:DWORD
	v_lshrrev_b32_e32 v24, 16, v11
	v_fma_f16 v20, v71, v10, v20
	v_mul_f16_sdwa v10, v71, v10 dst_sel:DWORD dst_unused:UNUSED_PAD src0_sel:WORD_1 src1_sel:DWORD
	v_fma_f16 v10, v71, v22, -v10
	v_mul_f16_sdwa v22, v72, v24 dst_sel:DWORD dst_unused:UNUSED_PAD src0_sel:WORD_1 src1_sel:DWORD
	v_lshrrev_b32_e32 v2, 16, v0
	v_lshrrev_b32_e32 v13, 16, v1
	v_fma_f16 v22, v72, v11, v22
	v_mul_f16_sdwa v11, v72, v11 dst_sel:DWORD dst_unused:UNUSED_PAD src0_sel:WORD_1 src1_sel:DWORD
	v_fma_f16 v11, v72, v24, -v11
	v_sub_f16_e32 v24, v0, v25
	v_sub_f16_e32 v5, v2, v5
	;; [unrolled: 1-line block ×4, first 2 shown]
	v_lshrrev_b32_e32 v19, 16, v8
	v_lshrrev_b32_e32 v21, 16, v9
	v_fma_f16 v0, v0, 2.0, -v24
	v_fma_f16 v2, v2, 2.0, -v5
	;; [unrolled: 1-line block ×4, first 2 shown]
	v_lshrrev_b32_e32 v23, 16, v4
	v_sub_f16_e32 v15, v8, v15
	v_sub_f16_e32 v7, v19, v7
	;; [unrolled: 1-line block ×4, first 2 shown]
	v_pack_b32_f16 v0, v0, v2
	v_pack_b32_f16 v2, v24, v5
	;; [unrolled: 1-line block ×3, first 2 shown]
	v_fma_f16 v8, v8, 2.0, -v15
	v_fma_f16 v19, v19, 2.0, -v7
	;; [unrolled: 1-line block ×4, first 2 shown]
	v_sub_f16_e32 v22, v4, v22
	v_sub_f16_e32 v11, v23, v11
	ds_write_b32 v45, v2 offset:1260
	ds_write2_b32 v45, v0, v1 offset1:63
	v_pack_b32_f16 v0, v12, v6
	v_pack_b32_f16 v2, v15, v7
	v_fma_f16 v4, v4, 2.0, -v22
	v_fma_f16 v23, v23, 2.0, -v11
	v_pack_b32_f16 v1, v8, v19
	ds_write2_b32 v3, v0, v2 offset0:122 offset1:185
	v_pack_b32_f16 v0, v9, v21
	ds_write2_b32 v45, v1, v0 offset0:126 offset1:189
	v_pack_b32_f16 v1, v4, v23
	v_pack_b32_f16 v0, v20, v10
	ds_write_b32 v45, v1 offset:1008
	v_pack_b32_f16 v1, v22, v11
	ds_write2_b32 v14, v0, v1 offset0:120 offset1:183
	s_waitcnt lgkmcnt(0)
	; wave barrier
	s_waitcnt lgkmcnt(0)
	ds_read2_b32 v[4:5], v45 offset1:63
	s_mov_b32 s12, 0x1a01a01a
	s_mov_b32 s13, 0x3f5a01a0
	v_mad_u64_u32 v[6:7], s[2:3], s10, v18, 0
	s_waitcnt lgkmcnt(0)
	v_lshrrev_b32_e32 v9, 16, v4
	v_mul_f16_sdwa v0, v55, v9 dst_sel:DWORD dst_unused:UNUSED_PAD src0_sel:WORD_1 src1_sel:DWORD
	v_fma_f16 v0, v55, v4, v0
	v_cvt_f32_f16_e32 v0, v0
	s_movk_i32 s10, 0x1ff
	v_mov_b32_e32 v2, v7
	v_mad_u64_u32 v[7:8], s[2:3], s11, v18, v[2:3]
	v_cvt_f64_f32_e32 v[0:1], v0
	s_movk_i32 s11, 0xffe
	v_mul_f16_sdwa v4, v55, v4 dst_sel:DWORD dst_unused:UNUSED_PAD src0_sel:WORD_1 src1_sel:DWORD
	v_fma_f16 v4, v55, v9, -v4
	v_mul_f64 v[0:1], v[0:1], s[12:13]
	v_cvt_f32_f16_e32 v4, v4
	s_movk_i32 s14, 0x40f
	s_mov_b32 s15, 0x8000
	v_lshlrev_b64 v[6:7], 2, v[6:7]
	v_and_or_b32 v0, v1, s10, v0
	v_cmp_ne_u32_e32 vcc, 0, v0
	v_cndmask_b32_e64 v0, 0, 1, vcc
	v_lshrrev_b32_e32 v2, 8, v1
	v_bfe_u32 v8, v1, 20, 11
	v_and_or_b32 v0, v2, s11, v0
	v_sub_u32_e32 v10, 0x3f1, v8
	v_or_b32_e32 v2, 0x1000, v0
	v_med3_i32 v10, v10, 0, 13
	v_lshrrev_b32_e32 v11, v10, v2
	v_lshlrev_b32_e32 v10, v10, v11
	v_cmp_ne_u32_e32 vcc, v10, v2
	v_cndmask_b32_e64 v2, 0, 1, vcc
	v_add_u32_e32 v10, 0xfffffc10, v8
	v_or_b32_e32 v2, v11, v2
	v_lshl_or_b32 v8, v10, 12, v0
	v_cmp_gt_i32_e32 vcc, 1, v10
	v_cndmask_b32_e32 v2, v8, v2, vcc
	v_and_b32_e32 v8, 7, v2
	v_cmp_lt_i32_e32 vcc, 5, v8
	v_cmp_eq_u32_e64 s[2:3], 3, v8
	v_cvt_f64_f32_e32 v[8:9], v4
	v_lshrrev_b32_e32 v2, 2, v2
	s_or_b64 vcc, s[2:3], vcc
	v_addc_co_u32_e32 v11, vcc, 0, v2, vcc
	v_mul_f64 v[8:9], v[8:9], s[12:13]
	v_mov_b32_e32 v2, 0x7c00
	v_cmp_gt_i32_e32 vcc, 31, v10
	v_cndmask_b32_e32 v4, v2, v11, vcc
	v_cmp_ne_u32_e32 vcc, 0, v0
	v_cndmask_b32_e64 v0, 0, 1, vcc
	v_lshl_or_b32 v0, v0, 9, v2
	v_cmp_eq_u32_e32 vcc, s14, v10
	v_cndmask_b32_e32 v0, v4, v0, vcc
	v_lshrrev_b32_e32 v1, 16, v1
	v_and_or_b32 v12, v1, s15, v0
	v_and_or_b32 v0, v9, s10, v8
	v_cmp_ne_u32_e32 vcc, 0, v0
	v_cndmask_b32_e64 v0, 0, 1, vcc
	v_lshrrev_b32_e32 v1, 8, v9
	v_bfe_u32 v4, v9, 20, 11
	v_and_or_b32 v0, v1, s11, v0
	v_sub_u32_e32 v8, 0x3f1, v4
	v_or_b32_e32 v1, 0x1000, v0
	v_med3_i32 v8, v8, 0, 13
	v_lshrrev_b32_e32 v10, v8, v1
	v_lshlrev_b32_e32 v8, v8, v10
	v_cmp_ne_u32_e32 vcc, v8, v1
	v_cndmask_b32_e64 v1, 0, 1, vcc
	v_add_u32_e32 v4, 0xfffffc10, v4
	v_or_b32_e32 v1, v10, v1
	v_lshl_or_b32 v8, v4, 12, v0
	v_cmp_gt_i32_e32 vcc, 1, v4
	v_cndmask_b32_e32 v1, v8, v1, vcc
	v_and_b32_e32 v8, 7, v1
	v_cmp_lt_i32_e32 vcc, 5, v8
	v_cmp_eq_u32_e64 s[2:3], 3, v8
	v_lshrrev_b32_e32 v1, 2, v1
	s_or_b64 vcc, s[2:3], vcc
	v_addc_co_u32_e32 v1, vcc, 0, v1, vcc
	v_cmp_gt_i32_e32 vcc, 31, v4
	v_cndmask_b32_e32 v1, v2, v1, vcc
	v_cmp_ne_u32_e32 vcc, 0, v0
	v_cndmask_b32_e64 v0, 0, 1, vcc
	v_lshl_or_b32 v0, v0, 9, v2
	v_cmp_eq_u32_e32 vcc, s14, v4
	v_mad_u64_u32 v[10:11], s[2:3], s8, v53, 0
	v_cndmask_b32_e32 v13, v1, v0, vcc
	ds_read2_b32 v[0:1], v45 offset0:126 offset1:210
	v_mov_b32_e32 v4, v11
	v_lshrrev_b32_e32 v14, 16, v9
	v_mad_u64_u32 v[8:9], s[2:3], s9, v53, v[4:5]
	s_waitcnt lgkmcnt(0)
	v_lshrrev_b32_e32 v4, 16, v1
	v_mul_f16_sdwa v9, v54, v4 dst_sel:DWORD dst_unused:UNUSED_PAD src0_sel:WORD_1 src1_sel:DWORD
	v_fma_f16 v9, v54, v1, v9
	v_cvt_f32_f16_e32 v9, v9
	v_mov_b32_e32 v11, v8
	v_and_or_b32 v13, v14, s15, v13
	v_and_b32_e32 v12, 0xffff, v12
	v_cvt_f64_f32_e32 v[8:9], v9
	v_lshl_or_b32 v12, v13, 16, v12
	v_mov_b32_e32 v13, s7
	v_add_co_u32_e32 v14, vcc, s6, v6
	v_mul_f64 v[8:9], v[8:9], s[12:13]
	v_addc_co_u32_e32 v13, vcc, v13, v7, vcc
	v_lshlrev_b64 v[6:7], 2, v[10:11]
	v_mul_f16_sdwa v1, v54, v1 dst_sel:DWORD dst_unused:UNUSED_PAD src0_sel:WORD_1 src1_sel:DWORD
	v_add_co_u32_e32 v6, vcc, v14, v6
	v_addc_co_u32_e32 v7, vcc, v13, v7, vcc
	v_and_or_b32 v8, v9, s10, v8
	v_cmp_ne_u32_e32 vcc, 0, v8
	v_cndmask_b32_e64 v8, 0, 1, vcc
	v_lshrrev_b32_e32 v10, 8, v9
	v_bfe_u32 v11, v9, 20, 11
	global_store_dword v[6:7], v12, off
	v_and_or_b32 v8, v10, s11, v8
	v_sub_u32_e32 v12, 0x3f1, v11
	v_or_b32_e32 v10, 0x1000, v8
	v_med3_i32 v12, v12, 0, 13
	v_lshrrev_b32_e32 v13, v12, v10
	v_lshlrev_b32_e32 v12, v12, v13
	v_cmp_ne_u32_e32 vcc, v12, v10
	v_fma_f16 v1, v54, v4, -v1
	v_cndmask_b32_e64 v10, 0, 1, vcc
	v_add_u32_e32 v12, 0xfffffc10, v11
	v_cvt_f32_f16_e32 v1, v1
	v_or_b32_e32 v10, v13, v10
	v_lshl_or_b32 v11, v12, 12, v8
	v_cmp_gt_i32_e32 vcc, 1, v12
	v_cndmask_b32_e32 v10, v11, v10, vcc
	v_and_b32_e32 v11, 7, v10
	v_cmp_lt_i32_e32 vcc, 5, v11
	v_cmp_eq_u32_e64 s[2:3], 3, v11
	v_lshrrev_b32_e32 v4, 2, v10
	v_cvt_f64_f32_e32 v[10:11], v1
	s_or_b64 vcc, s[2:3], vcc
	v_addc_co_u32_e32 v1, vcc, 0, v4, vcc
	v_mul_f64 v[10:11], v[10:11], s[12:13]
	v_cmp_gt_i32_e32 vcc, 31, v12
	v_cndmask_b32_e32 v1, v2, v1, vcc
	v_cmp_ne_u32_e32 vcc, 0, v8
	v_cndmask_b32_e64 v4, 0, 1, vcc
	v_lshl_or_b32 v4, v4, 9, v2
	v_cmp_eq_u32_e32 vcc, s14, v12
	v_cndmask_b32_e32 v1, v1, v4, vcc
	v_lshrrev_b32_e32 v4, 16, v9
	v_and_or_b32 v1, v4, s15, v1
	v_and_or_b32 v4, v11, s10, v10
	v_cmp_ne_u32_e32 vcc, 0, v4
	v_cndmask_b32_e64 v4, 0, 1, vcc
	v_lshrrev_b32_e32 v8, 8, v11
	v_bfe_u32 v9, v11, 20, 11
	v_and_or_b32 v4, v8, s11, v4
	v_sub_u32_e32 v10, 0x3f1, v9
	v_or_b32_e32 v8, 0x1000, v4
	v_med3_i32 v10, v10, 0, 13
	v_lshrrev_b32_e32 v12, v10, v8
	v_lshlrev_b32_e32 v10, v10, v12
	v_cmp_ne_u32_e32 vcc, v10, v8
	v_cndmask_b32_e64 v8, 0, 1, vcc
	v_add_u32_e32 v10, 0xfffffc10, v9
	v_or_b32_e32 v8, v12, v8
	v_lshl_or_b32 v9, v10, 12, v4
	v_cmp_gt_i32_e32 vcc, 1, v10
	v_cndmask_b32_e32 v8, v9, v8, vcc
	v_and_b32_e32 v9, 7, v8
	v_cmp_lt_i32_e32 vcc, 5, v9
	v_cmp_eq_u32_e64 s[2:3], 3, v9
	v_lshrrev_b32_e32 v8, 2, v8
	s_or_b64 vcc, s[2:3], vcc
	v_addc_co_u32_e32 v8, vcc, 0, v8, vcc
	v_cmp_gt_i32_e32 vcc, 31, v10
	v_cndmask_b32_e32 v12, v2, v8, vcc
	ds_read2_b32 v[8:9], v3 offset0:164 offset1:227
	v_cmp_ne_u32_e32 vcc, 0, v4
	v_cndmask_b32_e64 v4, 0, 1, vcc
	v_lshl_or_b32 v4, v4, 9, v2
	v_cmp_eq_u32_e32 vcc, s14, v10
	v_cndmask_b32_e32 v4, v12, v4, vcc
	v_lshrrev_b32_e32 v10, 16, v11
	s_waitcnt lgkmcnt(0)
	v_lshrrev_b32_e32 v12, 16, v8
	v_and_or_b32 v4, v10, s15, v4
	v_mul_f16_sdwa v10, v52, v12 dst_sel:DWORD dst_unused:UNUSED_PAD src0_sel:WORD_1 src1_sel:DWORD
	v_fma_f16 v10, v52, v8, v10
	v_cvt_f32_f16_e32 v10, v10
	s_mul_i32 s2, s9, 0xd2
	s_mul_hi_u32 s3, s8, 0xd2
	s_add_i32 s3, s3, s2
	v_cvt_f64_f32_e32 v[10:11], v10
	s_mul_i32 s2, s8, 0xd2
	v_and_b32_e32 v1, 0xffff, v1
	s_lshl_b64 s[6:7], s[2:3], 2
	v_mul_f64 v[10:11], v[10:11], s[12:13]
	v_lshl_or_b32 v4, v4, 16, v1
	v_mov_b32_e32 v1, s7
	v_add_co_u32_e32 v6, vcc, s6, v6
	v_addc_co_u32_e32 v7, vcc, v7, v1, vcc
	global_store_dword v[6:7], v4, off
	v_and_or_b32 v4, v11, s10, v10
	v_cmp_ne_u32_e32 vcc, 0, v4
	v_cndmask_b32_e64 v4, 0, 1, vcc
	v_lshrrev_b32_e32 v10, 8, v11
	v_bfe_u32 v13, v11, 20, 11
	v_and_or_b32 v4, v10, s11, v4
	v_sub_u32_e32 v14, 0x3f1, v13
	v_or_b32_e32 v10, 0x1000, v4
	v_med3_i32 v14, v14, 0, 13
	v_lshrrev_b32_e32 v15, v14, v10
	v_lshlrev_b32_e32 v14, v14, v15
	v_mul_f16_sdwa v8, v52, v8 dst_sel:DWORD dst_unused:UNUSED_PAD src0_sel:WORD_1 src1_sel:DWORD
	v_cmp_ne_u32_e32 vcc, v14, v10
	v_fma_f16 v8, v52, v12, -v8
	v_cndmask_b32_e64 v10, 0, 1, vcc
	v_add_u32_e32 v14, 0xfffffc10, v13
	v_cvt_f32_f16_e32 v8, v8
	v_or_b32_e32 v10, v15, v10
	v_lshl_or_b32 v13, v14, 12, v4
	v_cmp_gt_i32_e32 vcc, 1, v14
	v_cndmask_b32_e32 v10, v13, v10, vcc
	v_and_b32_e32 v13, 7, v10
	v_cmp_lt_i32_e32 vcc, 5, v13
	v_cmp_eq_u32_e64 s[2:3], 3, v13
	v_cvt_f64_f32_e32 v[12:13], v8
	v_lshrrev_b32_e32 v10, 2, v10
	s_or_b64 vcc, s[2:3], vcc
	v_addc_co_u32_e32 v8, vcc, 0, v10, vcc
	v_mul_f64 v[12:13], v[12:13], s[12:13]
	v_cmp_gt_i32_e32 vcc, 31, v14
	v_cndmask_b32_e32 v8, v2, v8, vcc
	v_cmp_ne_u32_e32 vcc, 0, v4
	v_cndmask_b32_e64 v4, 0, 1, vcc
	v_lshl_or_b32 v4, v4, 9, v2
	v_cmp_eq_u32_e32 vcc, s14, v14
	v_cndmask_b32_e32 v4, v8, v4, vcc
	v_lshrrev_b32_e32 v8, 16, v11
	v_and_or_b32 v4, v8, s15, v4
	v_and_or_b32 v8, v13, s10, v12
	v_cmp_ne_u32_e32 vcc, 0, v8
	v_cndmask_b32_e64 v8, 0, 1, vcc
	v_lshrrev_b32_e32 v10, 8, v13
	v_bfe_u32 v11, v13, 20, 11
	v_and_or_b32 v8, v10, s11, v8
	v_sub_u32_e32 v12, 0x3f1, v11
	v_or_b32_e32 v10, 0x1000, v8
	v_med3_i32 v12, v12, 0, 13
	v_lshrrev_b32_e32 v14, v12, v10
	v_lshlrev_b32_e32 v12, v12, v14
	v_cmp_ne_u32_e32 vcc, v12, v10
	v_cndmask_b32_e64 v10, 0, 1, vcc
	v_add_u32_e32 v12, 0xfffffc10, v11
	v_or_b32_e32 v10, v14, v10
	v_lshl_or_b32 v11, v12, 12, v8
	v_cmp_gt_i32_e32 vcc, 1, v12
	v_cndmask_b32_e32 v10, v11, v10, vcc
	v_and_b32_e32 v11, 7, v10
	v_cmp_lt_i32_e32 vcc, 5, v11
	v_cmp_eq_u32_e64 s[2:3], 3, v11
	v_lshrrev_b32_e32 v10, 2, v10
	s_or_b64 vcc, s[2:3], vcc
	v_addc_co_u32_e32 v10, vcc, 0, v10, vcc
	v_cmp_gt_i32_e32 vcc, 31, v12
	v_lshrrev_b32_e32 v15, 16, v5
	v_cndmask_b32_e32 v14, v2, v10, vcc
	v_mul_f16_sdwa v10, v51, v15 dst_sel:DWORD dst_unused:UNUSED_PAD src0_sel:WORD_1 src1_sel:DWORD
	v_fma_f16 v10, v51, v5, v10
	v_cvt_f32_f16_e32 v10, v10
	v_cmp_ne_u32_e32 vcc, 0, v8
	v_cndmask_b32_e64 v8, 0, 1, vcc
	v_lshl_or_b32 v8, v8, 9, v2
	v_cvt_f64_f32_e32 v[10:11], v10
	v_cmp_eq_u32_e32 vcc, s14, v12
	v_cndmask_b32_e32 v8, v14, v8, vcc
	v_lshrrev_b32_e32 v12, 16, v13
	v_mul_f64 v[10:11], v[10:11], s[12:13]
	v_and_or_b32 v8, v12, s15, v8
	v_and_b32_e32 v4, 0xffff, v4
	v_add_co_u32_e32 v6, vcc, s6, v6
	v_lshl_or_b32 v4, v8, 16, v4
	v_addc_co_u32_e32 v7, vcc, v7, v1, vcc
	global_store_dword v[6:7], v4, off
	v_and_or_b32 v4, v11, s10, v10
	v_cmp_ne_u32_e32 vcc, 0, v4
	v_cndmask_b32_e64 v4, 0, 1, vcc
	v_lshrrev_b32_e32 v8, 8, v11
	v_bfe_u32 v10, v11, 20, 11
	v_and_or_b32 v8, v8, s11, v4
	v_sub_u32_e32 v12, 0x3f1, v10
	v_or_b32_e32 v4, 0x1000, v8
	v_med3_i32 v12, v12, 0, 13
	v_lshrrev_b32_e32 v13, v12, v4
	v_lshlrev_b32_e32 v12, v12, v13
	v_mul_f16_sdwa v5, v51, v5 dst_sel:DWORD dst_unused:UNUSED_PAD src0_sel:WORD_1 src1_sel:DWORD
	v_cmp_ne_u32_e32 vcc, v12, v4
	v_fma_f16 v5, v51, v15, -v5
	v_cndmask_b32_e64 v4, 0, 1, vcc
	v_add_u32_e32 v10, 0xfffffc10, v10
	v_cvt_f32_f16_e32 v5, v5
	v_or_b32_e32 v4, v13, v4
	v_lshl_or_b32 v12, v10, 12, v8
	v_cmp_gt_i32_e32 vcc, 1, v10
	v_cndmask_b32_e32 v4, v12, v4, vcc
	v_and_b32_e32 v12, 7, v4
	v_cmp_lt_i32_e32 vcc, 5, v12
	v_cmp_eq_u32_e64 s[2:3], 3, v12
	v_lshrrev_b32_e32 v12, 2, v4
	v_cvt_f64_f32_e32 v[4:5], v5
	s_or_b64 vcc, s[2:3], vcc
	v_addc_co_u32_e32 v12, vcc, 0, v12, vcc
	v_mul_f64 v[4:5], v[4:5], s[12:13]
	v_cmp_gt_i32_e32 vcc, 31, v10
	v_cndmask_b32_e32 v12, v2, v12, vcc
	v_cmp_ne_u32_e32 vcc, 0, v8
	v_cndmask_b32_e64 v8, 0, 1, vcc
	v_lshl_or_b32 v8, v8, 9, v2
	v_cmp_eq_u32_e32 vcc, s14, v10
	v_cndmask_b32_e32 v8, v12, v8, vcc
	v_and_or_b32 v4, v5, s10, v4
	v_lshrrev_b32_e32 v10, 16, v11
	v_cmp_ne_u32_e32 vcc, 0, v4
	v_and_or_b32 v8, v10, s15, v8
	v_cndmask_b32_e64 v4, 0, 1, vcc
	v_lshrrev_b32_e32 v10, 8, v5
	v_bfe_u32 v11, v5, 20, 11
	v_and_or_b32 v4, v10, s11, v4
	v_sub_u32_e32 v12, 0x3f1, v11
	v_or_b32_e32 v10, 0x1000, v4
	v_med3_i32 v12, v12, 0, 13
	v_lshrrev_b32_e32 v13, v12, v10
	v_lshlrev_b32_e32 v12, v12, v13
	v_cmp_ne_u32_e32 vcc, v12, v10
	v_cndmask_b32_e64 v10, 0, 1, vcc
	v_add_u32_e32 v11, 0xfffffc10, v11
	v_or_b32_e32 v10, v13, v10
	v_lshl_or_b32 v12, v11, 12, v4
	v_cmp_gt_i32_e32 vcc, 1, v11
	v_cndmask_b32_e32 v10, v12, v10, vcc
	v_and_b32_e32 v12, 7, v10
	v_cmp_lt_i32_e32 vcc, 5, v12
	v_cmp_eq_u32_e64 s[2:3], 3, v12
	v_lshrrev_b32_e32 v10, 2, v10
	s_or_b64 vcc, s[2:3], vcc
	v_addc_co_u32_e32 v10, vcc, 0, v10, vcc
	v_cmp_gt_i32_e32 vcc, 31, v11
	v_cndmask_b32_e32 v10, v2, v10, vcc
	v_cmp_ne_u32_e32 vcc, 0, v4
	v_cndmask_b32_e64 v4, 0, 1, vcc
	v_lshl_or_b32 v12, v4, 9, v2
	ds_read2_b32 v[3:4], v3 offset0:17 offset1:80
	v_cmp_eq_u32_e32 vcc, s14, v11
	v_cndmask_b32_e32 v10, v10, v12, vcc
	v_lshrrev_b32_e32 v5, 16, v5
	v_and_or_b32 v5, v5, s15, v10
	s_waitcnt lgkmcnt(0)
	v_lshrrev_b32_e32 v12, 16, v3
	v_mul_f16_sdwa v10, v50, v12 dst_sel:DWORD dst_unused:UNUSED_PAD src0_sel:WORD_1 src1_sel:DWORD
	v_fma_f16 v10, v50, v3, v10
	v_cvt_f32_f16_e32 v10, v10
	s_mul_hi_u32 s3, s8, 0xfffffe9b
	s_mul_i32 s2, s9, 0xfffffe9b
	s_sub_i32 s3, s3, s8
	v_cvt_f64_f32_e32 v[10:11], v10
	s_add_i32 s3, s3, s2
	s_mul_i32 s2, s8, 0xfffffe9b
	v_and_b32_e32 v8, 0xffff, v8
	v_mul_f64 v[10:11], v[10:11], s[12:13]
	s_lshl_b64 s[4:5], s[2:3], 2
	v_lshl_or_b32 v8, v5, 16, v8
	v_mov_b32_e32 v13, s5
	v_add_co_u32_e32 v5, vcc, s4, v6
	v_addc_co_u32_e32 v6, vcc, v7, v13, vcc
	v_and_or_b32 v7, v11, s10, v10
	v_cmp_ne_u32_e32 vcc, 0, v7
	global_store_dword v[5:6], v8, off
	v_cndmask_b32_e64 v7, 0, 1, vcc
	v_lshrrev_b32_e32 v8, 8, v11
	v_and_or_b32 v10, v8, s11, v7
	v_bfe_u32 v8, v11, 20, 11
	v_sub_u32_e32 v14, 0x3f1, v8
	v_or_b32_e32 v7, 0x1000, v10
	v_med3_i32 v14, v14, 0, 13
	v_lshrrev_b32_e32 v15, v14, v7
	v_lshlrev_b32_e32 v14, v14, v15
	v_mul_f16_sdwa v3, v50, v3 dst_sel:DWORD dst_unused:UNUSED_PAD src0_sel:WORD_1 src1_sel:DWORD
	v_cmp_ne_u32_e32 vcc, v14, v7
	v_fma_f16 v3, v50, v12, -v3
	v_cndmask_b32_e64 v7, 0, 1, vcc
	v_add_u32_e32 v14, 0xfffffc10, v8
	v_cvt_f32_f16_e32 v3, v3
	v_or_b32_e32 v7, v15, v7
	v_lshl_or_b32 v8, v14, 12, v10
	v_cmp_gt_i32_e32 vcc, 1, v14
	v_cndmask_b32_e32 v7, v8, v7, vcc
	v_and_b32_e32 v8, 7, v7
	v_cmp_lt_i32_e32 vcc, 5, v8
	v_cmp_eq_u32_e64 s[2:3], 3, v8
	v_lshrrev_b32_e32 v12, 2, v7
	v_cvt_f64_f32_e32 v[7:8], v3
	s_or_b64 vcc, s[2:3], vcc
	v_addc_co_u32_e32 v3, vcc, 0, v12, vcc
	v_mul_f64 v[7:8], v[7:8], s[12:13]
	v_cmp_gt_i32_e32 vcc, 31, v14
	v_cndmask_b32_e32 v3, v2, v3, vcc
	v_cmp_ne_u32_e32 vcc, 0, v10
	v_cndmask_b32_e64 v10, 0, 1, vcc
	v_lshl_or_b32 v10, v10, 9, v2
	v_cmp_eq_u32_e32 vcc, s14, v14
	v_cndmask_b32_e32 v3, v3, v10, vcc
	v_and_or_b32 v7, v8, s10, v7
	v_lshrrev_b32_e32 v10, 16, v11
	v_cmp_ne_u32_e32 vcc, 0, v7
	v_and_or_b32 v3, v10, s15, v3
	v_cndmask_b32_e64 v7, 0, 1, vcc
	v_lshrrev_b32_e32 v10, 8, v8
	v_bfe_u32 v11, v8, 20, 11
	v_and_or_b32 v7, v10, s11, v7
	v_sub_u32_e32 v12, 0x3f1, v11
	v_or_b32_e32 v10, 0x1000, v7
	v_med3_i32 v12, v12, 0, 13
	v_lshrrev_b32_e32 v14, v12, v10
	v_lshlrev_b32_e32 v12, v12, v14
	v_cmp_ne_u32_e32 vcc, v12, v10
	v_cndmask_b32_e64 v10, 0, 1, vcc
	v_add_u32_e32 v12, 0xfffffc10, v11
	v_or_b32_e32 v10, v14, v10
	v_lshl_or_b32 v11, v12, 12, v7
	v_cmp_gt_i32_e32 vcc, 1, v12
	v_cndmask_b32_e32 v10, v11, v10, vcc
	v_and_b32_e32 v11, 7, v10
	v_cmp_lt_i32_e32 vcc, 5, v11
	v_cmp_eq_u32_e64 s[2:3], 3, v11
	v_lshrrev_b32_e32 v10, 2, v10
	s_or_b64 vcc, s[2:3], vcc
	v_addc_co_u32_e32 v10, vcc, 0, v10, vcc
	v_cmp_gt_i32_e32 vcc, 31, v12
	v_lshrrev_b32_e32 v15, 16, v9
	v_cndmask_b32_e32 v14, v2, v10, vcc
	v_mul_f16_sdwa v10, v49, v15 dst_sel:DWORD dst_unused:UNUSED_PAD src0_sel:WORD_1 src1_sel:DWORD
	v_fma_f16 v10, v49, v9, v10
	v_cvt_f32_f16_e32 v10, v10
	v_cmp_ne_u32_e32 vcc, 0, v7
	v_cndmask_b32_e64 v7, 0, 1, vcc
	v_lshl_or_b32 v7, v7, 9, v2
	v_cvt_f64_f32_e32 v[10:11], v10
	v_cmp_eq_u32_e32 vcc, s14, v12
	v_cndmask_b32_e32 v7, v14, v7, vcc
	v_lshrrev_b32_e32 v8, 16, v8
	v_and_or_b32 v12, v8, s15, v7
	v_mul_f64 v[7:8], v[10:11], s[12:13]
	v_and_b32_e32 v3, 0xffff, v3
	v_add_co_u32_e32 v5, vcc, s6, v5
	v_lshl_or_b32 v3, v12, 16, v3
	v_addc_co_u32_e32 v6, vcc, v6, v1, vcc
	global_store_dword v[5:6], v3, off
	v_and_or_b32 v3, v8, s10, v7
	v_cmp_ne_u32_e32 vcc, 0, v3
	v_cndmask_b32_e64 v3, 0, 1, vcc
	v_lshrrev_b32_e32 v7, 8, v8
	v_bfe_u32 v10, v8, 20, 11
	v_and_or_b32 v3, v7, s11, v3
	v_sub_u32_e32 v11, 0x3f1, v10
	v_or_b32_e32 v7, 0x1000, v3
	v_med3_i32 v11, v11, 0, 13
	v_lshrrev_b32_e32 v12, v11, v7
	v_lshlrev_b32_e32 v11, v11, v12
	v_mul_f16_sdwa v9, v49, v9 dst_sel:DWORD dst_unused:UNUSED_PAD src0_sel:WORD_1 src1_sel:DWORD
	v_cmp_ne_u32_e32 vcc, v11, v7
	v_fma_f16 v9, v49, v15, -v9
	v_cndmask_b32_e64 v7, 0, 1, vcc
	v_add_u32_e32 v11, 0xfffffc10, v10
	v_cvt_f32_f16_e32 v9, v9
	v_or_b32_e32 v7, v12, v7
	v_lshl_or_b32 v10, v11, 12, v3
	v_cmp_gt_i32_e32 vcc, 1, v11
	v_cndmask_b32_e32 v7, v10, v7, vcc
	v_and_b32_e32 v10, 7, v7
	v_cmp_lt_i32_e32 vcc, 5, v10
	v_cmp_eq_u32_e64 s[2:3], 3, v10
	v_cvt_f64_f32_e32 v[9:10], v9
	v_lshrrev_b32_e32 v7, 2, v7
	s_or_b64 vcc, s[2:3], vcc
	v_addc_co_u32_e32 v7, vcc, 0, v7, vcc
	v_mul_f64 v[9:10], v[9:10], s[12:13]
	v_cmp_gt_i32_e32 vcc, 31, v11
	v_cndmask_b32_e32 v7, v2, v7, vcc
	v_cmp_ne_u32_e32 vcc, 0, v3
	v_cndmask_b32_e64 v3, 0, 1, vcc
	v_lshl_or_b32 v3, v3, 9, v2
	v_cmp_eq_u32_e32 vcc, s14, v11
	v_cndmask_b32_e32 v3, v7, v3, vcc
	v_lshrrev_b32_e32 v7, 16, v8
	v_and_or_b32 v3, v7, s15, v3
	v_and_or_b32 v7, v10, s10, v9
	v_cmp_ne_u32_e32 vcc, 0, v7
	v_cndmask_b32_e64 v7, 0, 1, vcc
	v_lshrrev_b32_e32 v8, 8, v10
	v_bfe_u32 v9, v10, 20, 11
	v_and_or_b32 v7, v8, s11, v7
	v_sub_u32_e32 v11, 0x3f1, v9
	v_or_b32_e32 v8, 0x1000, v7
	v_med3_i32 v11, v11, 0, 13
	v_lshrrev_b32_e32 v12, v11, v8
	v_lshlrev_b32_e32 v11, v11, v12
	v_cmp_ne_u32_e32 vcc, v11, v8
	v_cndmask_b32_e64 v8, 0, 1, vcc
	v_add_u32_e32 v9, 0xfffffc10, v9
	v_or_b32_e32 v8, v12, v8
	v_lshl_or_b32 v11, v9, 12, v7
	v_cmp_gt_i32_e32 vcc, 1, v9
	v_cndmask_b32_e32 v8, v11, v8, vcc
	v_and_b32_e32 v11, 7, v8
	v_cmp_lt_i32_e32 vcc, 5, v11
	v_cmp_eq_u32_e64 s[2:3], 3, v11
	v_lshrrev_b32_e32 v8, 2, v8
	s_or_b64 vcc, s[2:3], vcc
	v_addc_co_u32_e32 v8, vcc, 0, v8, vcc
	v_cmp_gt_i32_e32 vcc, 31, v9
	v_lshrrev_b32_e32 v12, 16, v0
	v_cndmask_b32_e32 v11, v2, v8, vcc
	v_mul_f16_sdwa v8, v48, v12 dst_sel:DWORD dst_unused:UNUSED_PAD src0_sel:WORD_1 src1_sel:DWORD
	v_fma_f16 v8, v48, v0, v8
	v_cvt_f32_f16_e32 v8, v8
	v_cmp_ne_u32_e32 vcc, 0, v7
	v_cndmask_b32_e64 v7, 0, 1, vcc
	v_lshl_or_b32 v14, v7, 9, v2
	v_cvt_f64_f32_e32 v[7:8], v8
	v_cmp_eq_u32_e32 vcc, s14, v9
	v_cndmask_b32_e32 v9, v11, v14, vcc
	v_lshrrev_b32_e32 v10, 16, v10
	v_mul_f64 v[7:8], v[7:8], s[12:13]
	v_and_or_b32 v9, v10, s15, v9
	v_and_b32_e32 v3, 0xffff, v3
	v_add_co_u32_e32 v5, vcc, s6, v5
	v_lshl_or_b32 v3, v9, 16, v3
	v_addc_co_u32_e32 v6, vcc, v6, v1, vcc
	global_store_dword v[5:6], v3, off
	v_and_or_b32 v3, v8, s10, v7
	v_cmp_ne_u32_e32 vcc, 0, v3
	v_cndmask_b32_e64 v3, 0, 1, vcc
	v_lshrrev_b32_e32 v7, 8, v8
	v_bfe_u32 v9, v8, 20, 11
	v_and_or_b32 v3, v7, s11, v3
	v_sub_u32_e32 v10, 0x3f1, v9
	v_or_b32_e32 v7, 0x1000, v3
	v_med3_i32 v10, v10, 0, 13
	v_lshrrev_b32_e32 v11, v10, v7
	v_lshlrev_b32_e32 v10, v10, v11
	v_cmp_ne_u32_e32 vcc, v10, v7
	v_mul_f16_sdwa v0, v48, v0 dst_sel:DWORD dst_unused:UNUSED_PAD src0_sel:WORD_1 src1_sel:DWORD
	v_cndmask_b32_e64 v7, 0, 1, vcc
	v_fma_f16 v0, v48, v12, -v0
	v_or_b32_e32 v7, v11, v7
	v_add_u32_e32 v11, 0xfffffc10, v9
	v_cvt_f32_f16_e32 v0, v0
	v_lshl_or_b32 v9, v11, 12, v3
	v_cmp_gt_i32_e32 vcc, 1, v11
	v_cndmask_b32_e32 v7, v9, v7, vcc
	v_and_b32_e32 v9, 7, v7
	v_cmp_lt_i32_e32 vcc, 5, v9
	v_cmp_eq_u32_e64 s[2:3], 3, v9
	v_cvt_f64_f32_e32 v[9:10], v0
	v_lshrrev_b32_e32 v7, 2, v7
	s_or_b64 vcc, s[2:3], vcc
	v_addc_co_u32_e32 v0, vcc, 0, v7, vcc
	v_mul_f64 v[9:10], v[9:10], s[12:13]
	v_cmp_gt_i32_e32 vcc, 31, v11
	v_cndmask_b32_e32 v0, v2, v0, vcc
	v_cmp_ne_u32_e32 vcc, 0, v3
	v_cndmask_b32_e64 v3, 0, 1, vcc
	v_lshl_or_b32 v3, v3, 9, v2
	v_cmp_eq_u32_e32 vcc, s14, v11
	v_cndmask_b32_e32 v0, v0, v3, vcc
	v_lshrrev_b32_e32 v3, 16, v8
	v_and_or_b32 v0, v3, s15, v0
	v_and_or_b32 v3, v10, s10, v9
	v_cmp_ne_u32_e32 vcc, 0, v3
	v_cndmask_b32_e64 v3, 0, 1, vcc
	v_lshrrev_b32_e32 v7, 8, v10
	v_bfe_u32 v8, v10, 20, 11
	v_and_or_b32 v3, v7, s11, v3
	v_sub_u32_e32 v9, 0x3f1, v8
	v_or_b32_e32 v7, 0x1000, v3
	v_med3_i32 v9, v9, 0, 13
	v_lshrrev_b32_e32 v11, v9, v7
	v_lshlrev_b32_e32 v9, v9, v11
	v_cmp_ne_u32_e32 vcc, v9, v7
	v_cndmask_b32_e64 v7, 0, 1, vcc
	v_add_u32_e32 v9, 0xfffffc10, v8
	v_or_b32_e32 v7, v11, v7
	v_lshl_or_b32 v8, v9, 12, v3
	v_cmp_gt_i32_e32 vcc, 1, v9
	v_cndmask_b32_e32 v7, v8, v7, vcc
	v_and_b32_e32 v8, 7, v7
	v_cmp_lt_i32_e32 vcc, 5, v8
	v_cmp_eq_u32_e64 s[2:3], 3, v8
	v_lshrrev_b32_e32 v7, 2, v7
	s_or_b64 vcc, s[2:3], vcc
	v_addc_co_u32_e32 v7, vcc, 0, v7, vcc
	v_cmp_gt_i32_e32 vcc, 31, v9
	v_lshrrev_b32_e32 v12, 16, v4
	v_cndmask_b32_e32 v11, v2, v7, vcc
	v_mul_f16_sdwa v7, v47, v12 dst_sel:DWORD dst_unused:UNUSED_PAD src0_sel:WORD_1 src1_sel:DWORD
	v_fma_f16 v7, v47, v4, v7
	v_cvt_f32_f16_e32 v7, v7
	v_cmp_ne_u32_e32 vcc, 0, v3
	v_cndmask_b32_e64 v3, 0, 1, vcc
	v_lshl_or_b32 v3, v3, 9, v2
	v_cvt_f64_f32_e32 v[7:8], v7
	v_cmp_eq_u32_e32 vcc, s14, v9
	v_cndmask_b32_e32 v3, v11, v3, vcc
	v_lshrrev_b32_e32 v9, 16, v10
	v_mul_f64 v[7:8], v[7:8], s[12:13]
	v_and_or_b32 v3, v9, s15, v3
	v_and_b32_e32 v0, 0xffff, v0
	v_add_co_u32_e32 v5, vcc, s4, v5
	v_lshl_or_b32 v0, v3, 16, v0
	v_addc_co_u32_e32 v6, vcc, v6, v13, vcc
	global_store_dword v[5:6], v0, off
	v_and_or_b32 v0, v8, s10, v7
	v_cmp_ne_u32_e32 vcc, 0, v0
	v_cndmask_b32_e64 v0, 0, 1, vcc
	v_lshrrev_b32_e32 v3, 8, v8
	v_bfe_u32 v7, v8, 20, 11
	v_and_or_b32 v0, v3, s11, v0
	v_sub_u32_e32 v9, 0x3f1, v7
	v_or_b32_e32 v3, 0x1000, v0
	v_med3_i32 v9, v9, 0, 13
	v_lshrrev_b32_e32 v10, v9, v3
	v_lshlrev_b32_e32 v9, v9, v10
	v_mul_f16_sdwa v4, v47, v4 dst_sel:DWORD dst_unused:UNUSED_PAD src0_sel:WORD_1 src1_sel:DWORD
	v_cmp_ne_u32_e32 vcc, v9, v3
	v_fma_f16 v4, v47, v12, -v4
	v_cndmask_b32_e64 v3, 0, 1, vcc
	v_add_u32_e32 v7, 0xfffffc10, v7
	v_cvt_f32_f16_e32 v4, v4
	v_or_b32_e32 v3, v10, v3
	v_lshl_or_b32 v9, v7, 12, v0
	v_cmp_gt_i32_e32 vcc, 1, v7
	v_cndmask_b32_e32 v3, v9, v3, vcc
	v_and_b32_e32 v9, 7, v3
	v_cmp_lt_i32_e32 vcc, 5, v9
	v_cmp_eq_u32_e64 s[2:3], 3, v9
	v_lshrrev_b32_e32 v9, 2, v3
	v_cvt_f64_f32_e32 v[3:4], v4
	s_or_b64 vcc, s[2:3], vcc
	v_addc_co_u32_e32 v9, vcc, 0, v9, vcc
	v_mul_f64 v[3:4], v[3:4], s[12:13]
	v_cmp_gt_i32_e32 vcc, 31, v7
	v_cndmask_b32_e32 v9, v2, v9, vcc
	v_cmp_ne_u32_e32 vcc, 0, v0
	v_cndmask_b32_e64 v0, 0, 1, vcc
	v_lshl_or_b32 v0, v0, 9, v2
	v_cmp_eq_u32_e32 vcc, s14, v7
	v_cndmask_b32_e32 v0, v9, v0, vcc
	v_and_or_b32 v3, v4, s10, v3
	v_lshrrev_b32_e32 v7, 16, v8
	v_cmp_ne_u32_e32 vcc, 0, v3
	v_and_or_b32 v0, v7, s15, v0
	v_cndmask_b32_e64 v3, 0, 1, vcc
	v_lshrrev_b32_e32 v7, 8, v4
	v_bfe_u32 v8, v4, 20, 11
	v_and_or_b32 v3, v7, s11, v3
	v_sub_u32_e32 v9, 0x3f1, v8
	v_or_b32_e32 v7, 0x1000, v3
	v_med3_i32 v9, v9, 0, 13
	v_lshrrev_b32_e32 v10, v9, v7
	v_lshlrev_b32_e32 v9, v9, v10
	v_cmp_ne_u32_e32 vcc, v9, v7
	v_cndmask_b32_e64 v7, 0, 1, vcc
	v_add_u32_e32 v9, 0xfffffc10, v8
	v_or_b32_e32 v7, v10, v7
	v_lshl_or_b32 v8, v9, 12, v3
	v_cmp_gt_i32_e32 vcc, 1, v9
	v_cndmask_b32_e32 v7, v8, v7, vcc
	ds_read_b32 v10, v45 offset:2184
	v_and_b32_e32 v8, 7, v7
	v_cmp_lt_i32_e32 vcc, 5, v8
	v_cmp_eq_u32_e64 s[2:3], 3, v8
	v_lshrrev_b32_e32 v7, 2, v7
	s_or_b64 vcc, s[2:3], vcc
	v_addc_co_u32_e32 v7, vcc, 0, v7, vcc
	v_cmp_gt_i32_e32 vcc, 31, v9
	s_waitcnt lgkmcnt(0)
	v_lshrrev_b32_e32 v12, 16, v10
	v_cndmask_b32_e32 v11, v2, v7, vcc
	v_mul_f16_sdwa v7, v46, v12 dst_sel:DWORD dst_unused:UNUSED_PAD src0_sel:WORD_1 src1_sel:DWORD
	v_fma_f16 v7, v46, v10, v7
	v_cvt_f32_f16_e32 v7, v7
	v_cmp_ne_u32_e32 vcc, 0, v3
	v_cndmask_b32_e64 v3, 0, 1, vcc
	v_lshl_or_b32 v3, v3, 9, v2
	v_cvt_f64_f32_e32 v[7:8], v7
	v_cmp_eq_u32_e32 vcc, s14, v9
	v_cndmask_b32_e32 v3, v11, v3, vcc
	v_lshrrev_b32_e32 v4, 16, v4
	v_and_or_b32 v9, v4, s15, v3
	v_mul_f64 v[3:4], v[7:8], s[12:13]
	v_and_b32_e32 v0, 0xffff, v0
	v_add_co_u32_e32 v5, vcc, s6, v5
	v_lshl_or_b32 v0, v9, 16, v0
	v_addc_co_u32_e32 v6, vcc, v6, v1, vcc
	global_store_dword v[5:6], v0, off
	v_and_or_b32 v0, v4, s10, v3
	v_cmp_ne_u32_e32 vcc, 0, v0
	v_cndmask_b32_e64 v0, 0, 1, vcc
	v_lshrrev_b32_e32 v3, 8, v4
	v_bfe_u32 v7, v4, 20, 11
	v_and_or_b32 v0, v3, s11, v0
	v_sub_u32_e32 v8, 0x3f1, v7
	v_or_b32_e32 v3, 0x1000, v0
	v_med3_i32 v8, v8, 0, 13
	v_lshrrev_b32_e32 v9, v8, v3
	v_lshlrev_b32_e32 v8, v8, v9
	v_cmp_ne_u32_e32 vcc, v8, v3
	v_mul_f16_sdwa v8, v46, v10 dst_sel:DWORD dst_unused:UNUSED_PAD src0_sel:WORD_1 src1_sel:DWORD
	v_cndmask_b32_e64 v3, 0, 1, vcc
	v_fma_f16 v8, v46, v12, -v8
	v_or_b32_e32 v3, v9, v3
	v_add_u32_e32 v9, 0xfffffc10, v7
	v_cvt_f32_f16_e32 v8, v8
	v_lshl_or_b32 v7, v9, 12, v0
	v_cmp_gt_i32_e32 vcc, 1, v9
	v_cndmask_b32_e32 v3, v7, v3, vcc
	v_and_b32_e32 v7, 7, v3
	v_cmp_lt_i32_e32 vcc, 5, v7
	v_cmp_eq_u32_e64 s[2:3], 3, v7
	v_cvt_f64_f32_e32 v[7:8], v8
	v_lshrrev_b32_e32 v3, 2, v3
	s_or_b64 vcc, s[2:3], vcc
	v_addc_co_u32_e32 v3, vcc, 0, v3, vcc
	v_mul_f64 v[7:8], v[7:8], s[12:13]
	v_cmp_gt_i32_e32 vcc, 31, v9
	v_cndmask_b32_e32 v3, v2, v3, vcc
	v_cmp_ne_u32_e32 vcc, 0, v0
	v_cndmask_b32_e64 v0, 0, 1, vcc
	v_lshl_or_b32 v0, v0, 9, v2
	v_cmp_eq_u32_e32 vcc, s14, v9
	v_cndmask_b32_e32 v0, v3, v0, vcc
	v_lshrrev_b32_e32 v3, 16, v4
	v_and_or_b32 v0, v3, s15, v0
	v_and_or_b32 v3, v8, s10, v7
	v_cmp_ne_u32_e32 vcc, 0, v3
	v_cndmask_b32_e64 v3, 0, 1, vcc
	v_lshrrev_b32_e32 v4, 8, v8
	v_bfe_u32 v7, v8, 20, 11
	v_and_or_b32 v3, v4, s11, v3
	v_sub_u32_e32 v9, 0x3f1, v7
	v_or_b32_e32 v4, 0x1000, v3
	v_med3_i32 v9, v9, 0, 13
	v_lshrrev_b32_e32 v10, v9, v4
	v_lshlrev_b32_e32 v9, v9, v10
	v_cmp_ne_u32_e32 vcc, v9, v4
	v_cndmask_b32_e64 v4, 0, 1, vcc
	v_add_u32_e32 v7, 0xfffffc10, v7
	v_or_b32_e32 v4, v10, v4
	v_lshl_or_b32 v9, v7, 12, v3
	v_cmp_gt_i32_e32 vcc, 1, v7
	v_cndmask_b32_e32 v4, v9, v4, vcc
	v_and_b32_e32 v9, 7, v4
	v_cmp_lt_i32_e32 vcc, 5, v9
	v_cmp_eq_u32_e64 s[2:3], 3, v9
	v_lshrrev_b32_e32 v4, 2, v4
	s_or_b64 vcc, s[2:3], vcc
	v_addc_co_u32_e32 v4, vcc, 0, v4, vcc
	v_cmp_gt_i32_e32 vcc, 31, v7
	v_cndmask_b32_e32 v4, v2, v4, vcc
	v_cmp_ne_u32_e32 vcc, 0, v3
	v_cndmask_b32_e64 v3, 0, 1, vcc
	v_lshl_or_b32 v3, v3, 9, v2
	v_cmp_eq_u32_e32 vcc, s14, v7
	v_cndmask_b32_e32 v3, v4, v3, vcc
	v_lshrrev_b32_e32 v4, 16, v8
	v_and_or_b32 v3, v4, s15, v3
	v_and_b32_e32 v0, 0xffff, v0
	v_lshl_or_b32 v3, v3, 16, v0
	v_add_co_u32_e32 v0, vcc, s6, v5
	v_addc_co_u32_e32 v1, vcc, v6, v1, vcc
	global_store_dword v[0:1], v3, off
	s_and_b64 exec, exec, s[0:1]
	s_cbranch_execz .LBB0_31
; %bb.30:
	global_load_dword v5, v[16:17], off offset:756
	global_load_dword v11, v[16:17], off offset:1596
	v_add_u32_e32 v3, 0x280, v45
	ds_read2_b32 v[3:4], v3 offset0:29 offset1:239
	global_load_dword v12, v[16:17], off offset:2436
	v_mov_b32_e32 v14, s5
	v_add_co_u32_e32 v0, vcc, s4, v0
	s_waitcnt lgkmcnt(0)
	v_lshrrev_b32_e32 v6, 16, v3
	v_lshrrev_b32_e32 v13, 16, v4
	v_addc_co_u32_e32 v1, vcc, v1, v14, vcc
	s_waitcnt vmcnt(2)
	v_mul_f16_sdwa v7, v6, v5 dst_sel:DWORD dst_unused:UNUSED_PAD src0_sel:DWORD src1_sel:WORD_1
	v_mul_f16_sdwa v8, v3, v5 dst_sel:DWORD dst_unused:UNUSED_PAD src0_sel:DWORD src1_sel:WORD_1
	v_fma_f16 v3, v3, v5, v7
	v_cvt_f32_f16_e32 v3, v3
	s_waitcnt vmcnt(1)
	v_mul_f16_sdwa v9, v13, v11 dst_sel:DWORD dst_unused:UNUSED_PAD src0_sel:DWORD src1_sel:WORD_1
	v_fma_f16 v5, v5, v6, -v8
	v_cvt_f32_f16_e32 v7, v5
	v_fma_f16 v8, v4, v11, v9
	v_cvt_f64_f32_e32 v[5:6], v3
	v_cvt_f32_f16_e32 v3, v8
	v_cvt_f64_f32_e32 v[7:8], v7
	v_mul_f16_sdwa v4, v4, v11 dst_sel:DWORD dst_unused:UNUSED_PAD src0_sel:DWORD src1_sel:WORD_1
	v_mul_f64 v[5:6], v[5:6], s[12:13]
	v_cvt_f64_f32_e32 v[9:10], v3
	v_mul_f64 v[7:8], v[7:8], s[12:13]
	v_fma_f16 v4, v11, v13, -v4
	v_cvt_f32_f16_e32 v4, v4
	v_mul_f64 v[9:10], v[9:10], s[12:13]
	v_and_or_b32 v3, v6, s10, v5
	v_cmp_ne_u32_e32 vcc, 0, v3
	v_and_or_b32 v7, v8, s10, v7
	v_lshrrev_b32_e32 v5, 8, v6
	v_bfe_u32 v14, v6, 20, 11
	v_and_or_b32 v9, v10, s10, v9
	v_cndmask_b32_e64 v3, 0, 1, vcc
	v_cmp_ne_u32_e32 vcc, 0, v7
	v_lshrrev_b32_e32 v15, 8, v8
	v_bfe_u32 v16, v8, 20, 11
	v_bfe_u32 v18, v10, 20, 11
	v_sub_u32_e32 v19, 0x3f1, v14
	v_cndmask_b32_e64 v7, 0, 1, vcc
	v_cmp_ne_u32_e32 vcc, 0, v9
	v_and_or_b32 v3, v5, s11, v3
	v_lshrrev_b32_e32 v17, 8, v10
	v_sub_u32_e32 v20, 0x3f1, v16
	v_cndmask_b32_e64 v9, 0, 1, vcc
	v_sub_u32_e32 v21, 0x3f1, v18
	v_med3_i32 v5, v19, 0, 13
	v_and_or_b32 v7, v15, s11, v7
	v_or_b32_e32 v19, 0x1000, v3
	v_add_u32_e32 v14, 0xfffffc10, v14
	v_med3_i32 v15, v20, 0, 13
	v_and_or_b32 v9, v17, s11, v9
	v_med3_i32 v17, v21, 0, 13
	v_cmp_ne_u32_e32 vcc, 0, v3
	v_or_b32_e32 v21, 0x1000, v7
	v_lshrrev_b32_e32 v25, v5, v19
	v_add_u32_e32 v16, 0xfffffc10, v16
	v_lshl_or_b32 v20, v14, 12, v3
	v_cndmask_b32_e64 v3, 0, 1, vcc
	v_cmp_ne_u32_e32 vcc, 0, v7
	v_or_b32_e32 v23, 0x1000, v9
	v_lshrrev_b32_e32 v26, v15, v21
	v_lshlrev_b32_e32 v5, v5, v25
	v_lshl_or_b32 v22, v16, 12, v7
	v_cndmask_b32_e64 v7, 0, 1, vcc
	v_lshrrev_b32_e32 v27, v17, v23
	v_lshlrev_b32_e32 v15, v15, v26
	v_cmp_ne_u32_e32 vcc, v5, v19
	v_lshlrev_b32_e32 v17, v17, v27
	v_cndmask_b32_e64 v5, 0, 1, vcc
	v_cmp_ne_u32_e32 vcc, v15, v21
	v_cndmask_b32_e64 v15, 0, 1, vcc
	v_cmp_ne_u32_e32 vcc, v17, v23
	v_cndmask_b32_e64 v17, 0, 1, vcc
	v_or_b32_e32 v5, v25, v5
	v_cmp_gt_i32_e32 vcc, 1, v14
	v_add_u32_e32 v18, 0xfffffc10, v18
	v_or_b32_e32 v15, v26, v15
	v_cndmask_b32_e32 v5, v20, v5, vcc
	v_cmp_gt_i32_e32 vcc, 1, v16
	v_lshl_or_b32 v24, v18, 12, v9
	v_or_b32_e32 v17, v27, v17
	v_cndmask_b32_e32 v15, v22, v15, vcc
	v_cmp_gt_i32_e32 vcc, 1, v18
	v_and_b32_e32 v19, 7, v5
	v_cndmask_b32_e32 v17, v24, v17, vcc
	v_cmp_lt_i32_e32 vcc, 5, v19
	v_cmp_eq_u32_e64 s[0:1], 3, v19
	v_lshrrev_b32_e32 v5, 2, v5
	v_and_b32_e32 v20, 7, v15
	s_or_b64 vcc, s[0:1], vcc
	v_cmp_lt_i32_e64 s[2:3], 5, v20
	v_cmp_eq_u32_e64 s[4:5], 3, v20
	v_addc_co_u32_e32 v5, vcc, 0, v5, vcc
	v_lshrrev_b32_e32 v15, 2, v15
	s_or_b64 vcc, s[4:5], s[2:3]
	v_addc_co_u32_e32 v15, vcc, 0, v15, vcc
	v_cmp_gt_i32_e32 vcc, 31, v14
	v_cndmask_b32_e32 v5, v2, v5, vcc
	v_cmp_gt_i32_e32 vcc, 31, v16
	v_lshl_or_b32 v3, v3, 9, v2
	v_cndmask_b32_e32 v15, v2, v15, vcc
	v_cmp_eq_u32_e32 vcc, s14, v14
	v_lshrrev_b32_e32 v6, 16, v6
	v_lshl_or_b32 v7, v7, 9, v2
	v_cndmask_b32_e32 v3, v5, v3, vcc
	v_cmp_eq_u32_e32 vcc, s14, v16
	v_lshrrev_b32_e32 v8, 16, v8
	v_cndmask_b32_e32 v5, v15, v7, vcc
	v_and_or_b32 v3, v6, s15, v3
	v_and_or_b32 v5, v8, s15, v5
	v_and_b32_e32 v3, 0xffff, v3
	v_lshl_or_b32 v3, v5, 16, v3
	global_store_dword v[0:1], v3, off
	v_and_b32_e32 v3, 7, v17
	v_cmp_lt_i32_e32 vcc, 5, v3
	v_cmp_eq_u32_e64 s[0:1], 3, v3
	v_cvt_f64_f32_e32 v[3:4], v4
	v_lshrrev_b32_e32 v5, 2, v17
	s_or_b64 vcc, s[0:1], vcc
	v_addc_co_u32_e32 v5, vcc, 0, v5, vcc
	v_mul_f64 v[3:4], v[3:4], s[12:13]
	v_cmp_gt_i32_e32 vcc, 31, v18
	v_cndmask_b32_e32 v5, v2, v5, vcc
	v_cmp_ne_u32_e32 vcc, 0, v9
	v_cndmask_b32_e64 v6, 0, 1, vcc
	v_lshl_or_b32 v6, v6, 9, v2
	v_cmp_eq_u32_e32 vcc, s14, v18
	v_cndmask_b32_e32 v5, v5, v6, vcc
	v_and_or_b32 v3, v4, s10, v3
	v_lshrrev_b32_e32 v6, 16, v10
	v_cmp_ne_u32_e32 vcc, 0, v3
	v_and_or_b32 v7, v6, s15, v5
	v_cndmask_b32_e64 v3, 0, 1, vcc
	v_lshrrev_b32_e32 v5, 8, v4
	v_bfe_u32 v6, v4, 20, 11
	v_and_or_b32 v3, v5, s11, v3
	v_sub_u32_e32 v8, 0x3f1, v6
	v_or_b32_e32 v5, 0x1000, v3
	v_med3_i32 v8, v8, 0, 13
	v_lshrrev_b32_e32 v9, v8, v5
	v_lshlrev_b32_e32 v8, v8, v9
	v_cmp_ne_u32_e32 vcc, v8, v5
	v_cndmask_b32_e64 v5, 0, 1, vcc
	v_add_u32_e32 v6, 0xfffffc10, v6
	v_or_b32_e32 v5, v9, v5
	v_lshl_or_b32 v8, v6, 12, v3
	v_cmp_gt_i32_e32 vcc, 1, v6
	v_cndmask_b32_e32 v5, v8, v5, vcc
	v_and_b32_e32 v8, 7, v5
	v_cmp_lt_i32_e32 vcc, 5, v8
	v_cmp_eq_u32_e64 s[0:1], 3, v8
	ds_read_b32 v8, v45 offset:2436
	v_lshrrev_b32_e32 v5, 2, v5
	s_or_b64 vcc, s[0:1], vcc
	v_addc_co_u32_e32 v5, vcc, 0, v5, vcc
	s_waitcnt lgkmcnt(0)
	v_lshrrev_b32_e32 v9, 16, v8
	s_waitcnt vmcnt(1)
	v_mul_f16_sdwa v10, v9, v12 dst_sel:DWORD dst_unused:UNUSED_PAD src0_sel:DWORD src1_sel:WORD_1
	v_fma_f16 v10, v8, v12, v10
	v_cmp_gt_i32_e32 vcc, 31, v6
	v_cvt_f32_f16_e32 v10, v10
	v_cndmask_b32_e32 v5, v2, v5, vcc
	v_cmp_ne_u32_e32 vcc, 0, v3
	v_cndmask_b32_e64 v3, 0, 1, vcc
	v_lshl_or_b32 v3, v3, 9, v2
	v_cmp_eq_u32_e32 vcc, s14, v6
	v_cndmask_b32_e32 v3, v5, v3, vcc
	v_cvt_f64_f32_e32 v[5:6], v10
	v_lshrrev_b32_e32 v4, 16, v4
	v_and_or_b32 v10, v4, s15, v3
	v_and_b32_e32 v7, 0xffff, v7
	v_mul_f64 v[3:4], v[5:6], s[12:13]
	v_lshl_or_b32 v5, v10, 16, v7
	v_mov_b32_e32 v7, s7
	v_add_co_u32_e32 v0, vcc, s6, v0
	v_addc_co_u32_e32 v1, vcc, v1, v7, vcc
	global_store_dword v[0:1], v5, off
	v_and_or_b32 v3, v4, s10, v3
	v_cmp_ne_u32_e32 vcc, 0, v3
	v_cndmask_b32_e64 v3, 0, 1, vcc
	v_lshrrev_b32_e32 v5, 8, v4
	v_bfe_u32 v6, v4, 20, 11
	v_and_or_b32 v3, v5, s11, v3
	v_sub_u32_e32 v10, 0x3f1, v6
	v_or_b32_e32 v5, 0x1000, v3
	v_med3_i32 v10, v10, 0, 13
	v_lshrrev_b32_e32 v11, v10, v5
	v_lshlrev_b32_e32 v10, v10, v11
	v_mul_f16_sdwa v8, v8, v12 dst_sel:DWORD dst_unused:UNUSED_PAD src0_sel:DWORD src1_sel:WORD_1
	v_cmp_ne_u32_e32 vcc, v10, v5
	v_fma_f16 v8, v12, v9, -v8
	v_cndmask_b32_e64 v5, 0, 1, vcc
	v_add_u32_e32 v10, 0xfffffc10, v6
	v_cvt_f32_f16_e32 v8, v8
	v_or_b32_e32 v5, v11, v5
	v_lshl_or_b32 v6, v10, 12, v3
	v_cmp_gt_i32_e32 vcc, 1, v10
	v_cndmask_b32_e32 v5, v6, v5, vcc
	v_and_b32_e32 v6, 7, v5
	v_cmp_lt_i32_e32 vcc, 5, v6
	v_cmp_eq_u32_e64 s[0:1], 3, v6
	v_lshrrev_b32_e32 v9, 2, v5
	v_cvt_f64_f32_e32 v[5:6], v8
	s_or_b64 vcc, s[0:1], vcc
	v_addc_co_u32_e32 v8, vcc, 0, v9, vcc
	v_mul_f64 v[5:6], v[5:6], s[12:13]
	v_cmp_gt_i32_e32 vcc, 31, v10
	v_cndmask_b32_e32 v8, v2, v8, vcc
	v_cmp_ne_u32_e32 vcc, 0, v3
	v_cndmask_b32_e64 v3, 0, 1, vcc
	v_lshl_or_b32 v3, v3, 9, v2
	v_cmp_eq_u32_e32 vcc, s14, v10
	v_cndmask_b32_e32 v3, v8, v3, vcc
	v_lshrrev_b32_e32 v4, 16, v4
	v_and_or_b32 v3, v4, s15, v3
	v_and_or_b32 v4, v6, s10, v5
	v_cmp_ne_u32_e32 vcc, 0, v4
	v_cndmask_b32_e64 v4, 0, 1, vcc
	v_lshrrev_b32_e32 v5, 8, v6
	v_bfe_u32 v8, v6, 20, 11
	v_and_or_b32 v4, v5, s11, v4
	v_sub_u32_e32 v9, 0x3f1, v8
	v_or_b32_e32 v5, 0x1000, v4
	v_med3_i32 v9, v9, 0, 13
	v_lshrrev_b32_e32 v10, v9, v5
	v_lshlrev_b32_e32 v9, v9, v10
	v_cmp_ne_u32_e32 vcc, v9, v5
	v_cndmask_b32_e64 v5, 0, 1, vcc
	v_add_u32_e32 v8, 0xfffffc10, v8
	v_or_b32_e32 v5, v10, v5
	v_lshl_or_b32 v9, v8, 12, v4
	v_cmp_gt_i32_e32 vcc, 1, v8
	v_cndmask_b32_e32 v5, v9, v5, vcc
	v_and_b32_e32 v9, 7, v5
	v_cmp_lt_i32_e32 vcc, 5, v9
	v_cmp_eq_u32_e64 s[0:1], 3, v9
	v_lshrrev_b32_e32 v5, 2, v5
	s_or_b64 vcc, s[0:1], vcc
	v_addc_co_u32_e32 v5, vcc, 0, v5, vcc
	v_cmp_gt_i32_e32 vcc, 31, v8
	v_cndmask_b32_e32 v5, v2, v5, vcc
	v_cmp_ne_u32_e32 vcc, 0, v4
	v_cndmask_b32_e64 v4, 0, 1, vcc
	v_lshl_or_b32 v2, v4, 9, v2
	v_cmp_eq_u32_e32 vcc, s14, v8
	v_cndmask_b32_e32 v2, v5, v2, vcc
	v_lshrrev_b32_e32 v4, 16, v6
	v_and_or_b32 v2, v4, s15, v2
	v_and_b32_e32 v3, 0xffff, v3
	v_add_co_u32_e32 v0, vcc, s6, v0
	v_lshl_or_b32 v2, v2, 16, v3
	v_addc_co_u32_e32 v1, vcc, v1, v7, vcc
	global_store_dword v[0:1], v2, off
.LBB0_31:
	s_endpgm
	.section	.rodata,"a",@progbits
	.p2align	6, 0x0
	.amdhsa_kernel bluestein_single_fwd_len630_dim1_half_op_CI_CI
		.amdhsa_group_segment_fixed_size 2520
		.amdhsa_private_segment_fixed_size 0
		.amdhsa_kernarg_size 104
		.amdhsa_user_sgpr_count 6
		.amdhsa_user_sgpr_private_segment_buffer 1
		.amdhsa_user_sgpr_dispatch_ptr 0
		.amdhsa_user_sgpr_queue_ptr 0
		.amdhsa_user_sgpr_kernarg_segment_ptr 1
		.amdhsa_user_sgpr_dispatch_id 0
		.amdhsa_user_sgpr_flat_scratch_init 0
		.amdhsa_user_sgpr_private_segment_size 0
		.amdhsa_uses_dynamic_stack 0
		.amdhsa_system_sgpr_private_segment_wavefront_offset 0
		.amdhsa_system_sgpr_workgroup_id_x 1
		.amdhsa_system_sgpr_workgroup_id_y 0
		.amdhsa_system_sgpr_workgroup_id_z 0
		.amdhsa_system_sgpr_workgroup_info 0
		.amdhsa_system_vgpr_workitem_id 0
		.amdhsa_next_free_vgpr 101
		.amdhsa_next_free_sgpr 20
		.amdhsa_reserve_vcc 1
		.amdhsa_reserve_flat_scratch 0
		.amdhsa_float_round_mode_32 0
		.amdhsa_float_round_mode_16_64 0
		.amdhsa_float_denorm_mode_32 3
		.amdhsa_float_denorm_mode_16_64 3
		.amdhsa_dx10_clamp 1
		.amdhsa_ieee_mode 1
		.amdhsa_fp16_overflow 0
		.amdhsa_exception_fp_ieee_invalid_op 0
		.amdhsa_exception_fp_denorm_src 0
		.amdhsa_exception_fp_ieee_div_zero 0
		.amdhsa_exception_fp_ieee_overflow 0
		.amdhsa_exception_fp_ieee_underflow 0
		.amdhsa_exception_fp_ieee_inexact 0
		.amdhsa_exception_int_div_zero 0
	.end_amdhsa_kernel
	.text
.Lfunc_end0:
	.size	bluestein_single_fwd_len630_dim1_half_op_CI_CI, .Lfunc_end0-bluestein_single_fwd_len630_dim1_half_op_CI_CI
                                        ; -- End function
	.section	.AMDGPU.csdata,"",@progbits
; Kernel info:
; codeLenInByte = 18720
; NumSgprs: 24
; NumVgprs: 101
; ScratchSize: 0
; MemoryBound: 0
; FloatMode: 240
; IeeeMode: 1
; LDSByteSize: 2520 bytes/workgroup (compile time only)
; SGPRBlocks: 2
; VGPRBlocks: 25
; NumSGPRsForWavesPerEU: 24
; NumVGPRsForWavesPerEU: 101
; Occupancy: 2
; WaveLimiterHint : 1
; COMPUTE_PGM_RSRC2:SCRATCH_EN: 0
; COMPUTE_PGM_RSRC2:USER_SGPR: 6
; COMPUTE_PGM_RSRC2:TRAP_HANDLER: 0
; COMPUTE_PGM_RSRC2:TGID_X_EN: 1
; COMPUTE_PGM_RSRC2:TGID_Y_EN: 0
; COMPUTE_PGM_RSRC2:TGID_Z_EN: 0
; COMPUTE_PGM_RSRC2:TIDIG_COMP_CNT: 0
	.type	__hip_cuid_f4f07b6b041885f2,@object ; @__hip_cuid_f4f07b6b041885f2
	.section	.bss,"aw",@nobits
	.globl	__hip_cuid_f4f07b6b041885f2
__hip_cuid_f4f07b6b041885f2:
	.byte	0                               ; 0x0
	.size	__hip_cuid_f4f07b6b041885f2, 1

	.ident	"AMD clang version 19.0.0git (https://github.com/RadeonOpenCompute/llvm-project roc-6.4.0 25133 c7fe45cf4b819c5991fe208aaa96edf142730f1d)"
	.section	".note.GNU-stack","",@progbits
	.addrsig
	.addrsig_sym __hip_cuid_f4f07b6b041885f2
	.amdgpu_metadata
---
amdhsa.kernels:
  - .args:
      - .actual_access:  read_only
        .address_space:  global
        .offset:         0
        .size:           8
        .value_kind:     global_buffer
      - .actual_access:  read_only
        .address_space:  global
        .offset:         8
        .size:           8
        .value_kind:     global_buffer
      - .actual_access:  read_only
        .address_space:  global
        .offset:         16
        .size:           8
        .value_kind:     global_buffer
      - .actual_access:  read_only
        .address_space:  global
        .offset:         24
        .size:           8
        .value_kind:     global_buffer
      - .actual_access:  read_only
        .address_space:  global
        .offset:         32
        .size:           8
        .value_kind:     global_buffer
      - .offset:         40
        .size:           8
        .value_kind:     by_value
      - .address_space:  global
        .offset:         48
        .size:           8
        .value_kind:     global_buffer
      - .address_space:  global
        .offset:         56
        .size:           8
        .value_kind:     global_buffer
      - .address_space:  global
        .offset:         64
        .size:           8
        .value_kind:     global_buffer
      - .address_space:  global
        .offset:         72
        .size:           8
        .value_kind:     global_buffer
      - .offset:         80
        .size:           4
        .value_kind:     by_value
      - .address_space:  global
        .offset:         88
        .size:           8
        .value_kind:     global_buffer
      - .address_space:  global
        .offset:         96
        .size:           8
        .value_kind:     global_buffer
    .group_segment_fixed_size: 2520
    .kernarg_segment_align: 8
    .kernarg_segment_size: 104
    .language:       OpenCL C
    .language_version:
      - 2
      - 0
    .max_flat_workgroup_size: 63
    .name:           bluestein_single_fwd_len630_dim1_half_op_CI_CI
    .private_segment_fixed_size: 0
    .sgpr_count:     24
    .sgpr_spill_count: 0
    .symbol:         bluestein_single_fwd_len630_dim1_half_op_CI_CI.kd
    .uniform_work_group_size: 1
    .uses_dynamic_stack: false
    .vgpr_count:     101
    .vgpr_spill_count: 0
    .wavefront_size: 64
amdhsa.target:   amdgcn-amd-amdhsa--gfx906
amdhsa.version:
  - 1
  - 2
...

	.end_amdgpu_metadata
